;; amdgpu-corpus repo=ROCm/hipCUB kind=compiled arch=gfx1250 opt=O3
	.amdgcn_target "amdgcn-amd-amdhsa--gfx1250"
	.amdhsa_code_object_version 6
	.section	.text._Z25blocked_to_striped_kernelIsiLj2106ELj9EEvPT_PT0_,"axG",@progbits,_Z25blocked_to_striped_kernelIsiLj2106ELj9EEvPT_PT0_,comdat
	.protected	_Z25blocked_to_striped_kernelIsiLj2106ELj9EEvPT_PT0_ ; -- Begin function _Z25blocked_to_striped_kernelIsiLj2106ELj9EEvPT_PT0_
	.globl	_Z25blocked_to_striped_kernelIsiLj2106ELj9EEvPT_PT0_
	.p2align	8
	.type	_Z25blocked_to_striped_kernelIsiLj2106ELj9EEvPT_PT0_,@function
_Z25blocked_to_striped_kernelIsiLj2106ELj9EEvPT_PT0_: ; @_Z25blocked_to_striped_kernelIsiLj2106ELj9EEvPT_PT0_
; %bb.0:
	s_load_b128 s[0:3], s[0:1], 0x0
	s_bfe_u32 s4, ttmp6, 0x4000c
	s_and_b32 s5, ttmp6, 15
	s_add_co_i32 s4, s4, 1
	s_getreg_b32 s6, hwreg(HW_REG_IB_STS2, 6, 4)
	s_mul_i32 s4, ttmp9, s4
	v_mul_u32_u24_e32 v8, 9, v0
	s_add_co_i32 s5, s5, s4
	s_cmp_eq_u32 s6, 0
	v_lshlrev_b32_e32 v0, 4, v0
	s_cselect_b32 s4, ttmp9, s5
	s_mov_b32 s5, 0
	s_mulk_i32 s4, 0x83a
	v_dual_lshlrev_b32 v1, 1, v8 :: v_dual_lshlrev_b32 v10, 2, v8
	s_lshl_b64 s[6:7], s[4:5], 1
	s_delay_alu instid0(VALU_DEP_1)
	v_sub_nc_u32_e32 v9, v1, v0
	s_wait_kmcnt 0x0
	s_add_nc_u64 s[0:1], s[0:1], s[6:7]
	s_clause 0x1
	global_load_b128 v[2:5], v1, s[0:1]
	global_load_u16 v6, v8, s[0:1] offset:16 scale_offset
	s_wait_xcnt 0x0
	s_lshl_b64 s[0:1], s[4:5], 2
	s_wait_loadcnt 0x1
	ds_store_b128 v1, v[2:5]
	s_wait_loadcnt 0x0
	ds_store_b16 v1, v6 offset:16
	s_wait_dscnt 0x0
	s_barrier_signal -1
	s_barrier_wait -1
	ds_load_i16 v0, v9
	ds_load_i16 v1, v9 offset:468
	ds_load_i16 v2, v9 offset:936
	ds_load_i16 v4, v9 offset:1872
	ds_load_i16 v5, v9 offset:2340
	ds_load_i16 v6, v9 offset:2808
	ds_load_i16 v7, v9 offset:3276
	ds_load_i16 v3, v9 offset:1404
	ds_load_i16 v9, v9 offset:3744
	s_add_nc_u64 s[0:1], s[2:3], s[0:1]
	s_wait_dscnt 0x2
	global_store_b128 v10, v[4:7], s[0:1] offset:16
	s_wait_dscnt 0x1
	global_store_b128 v10, v[0:3], s[0:1]
	s_wait_dscnt 0x0
	global_store_b32 v8, v9, s[0:1] offset:32 scale_offset
	s_endpgm
	.section	.rodata,"a",@progbits
	.p2align	6, 0x0
	.amdhsa_kernel _Z25blocked_to_striped_kernelIsiLj2106ELj9EEvPT_PT0_
		.amdhsa_group_segment_fixed_size 4224
		.amdhsa_private_segment_fixed_size 0
		.amdhsa_kernarg_size 16
		.amdhsa_user_sgpr_count 2
		.amdhsa_user_sgpr_dispatch_ptr 0
		.amdhsa_user_sgpr_queue_ptr 0
		.amdhsa_user_sgpr_kernarg_segment_ptr 1
		.amdhsa_user_sgpr_dispatch_id 0
		.amdhsa_user_sgpr_kernarg_preload_length 0
		.amdhsa_user_sgpr_kernarg_preload_offset 0
		.amdhsa_user_sgpr_private_segment_size 0
		.amdhsa_wavefront_size32 1
		.amdhsa_uses_dynamic_stack 0
		.amdhsa_enable_private_segment 0
		.amdhsa_system_sgpr_workgroup_id_x 1
		.amdhsa_system_sgpr_workgroup_id_y 0
		.amdhsa_system_sgpr_workgroup_id_z 0
		.amdhsa_system_sgpr_workgroup_info 0
		.amdhsa_system_vgpr_workitem_id 0
		.amdhsa_next_free_vgpr 11
		.amdhsa_next_free_sgpr 8
		.amdhsa_named_barrier_count 0
		.amdhsa_reserve_vcc 0
		.amdhsa_float_round_mode_32 0
		.amdhsa_float_round_mode_16_64 0
		.amdhsa_float_denorm_mode_32 3
		.amdhsa_float_denorm_mode_16_64 3
		.amdhsa_fp16_overflow 0
		.amdhsa_memory_ordered 1
		.amdhsa_forward_progress 1
		.amdhsa_inst_pref_size 3
		.amdhsa_round_robin_scheduling 0
		.amdhsa_exception_fp_ieee_invalid_op 0
		.amdhsa_exception_fp_denorm_src 0
		.amdhsa_exception_fp_ieee_div_zero 0
		.amdhsa_exception_fp_ieee_overflow 0
		.amdhsa_exception_fp_ieee_underflow 0
		.amdhsa_exception_fp_ieee_inexact 0
		.amdhsa_exception_int_div_zero 0
	.end_amdhsa_kernel
	.section	.text._Z25blocked_to_striped_kernelIsiLj2106ELj9EEvPT_PT0_,"axG",@progbits,_Z25blocked_to_striped_kernelIsiLj2106ELj9EEvPT_PT0_,comdat
.Lfunc_end0:
	.size	_Z25blocked_to_striped_kernelIsiLj2106ELj9EEvPT_PT0_, .Lfunc_end0-_Z25blocked_to_striped_kernelIsiLj2106ELj9EEvPT_PT0_
                                        ; -- End function
	.set _Z25blocked_to_striped_kernelIsiLj2106ELj9EEvPT_PT0_.num_vgpr, 11
	.set _Z25blocked_to_striped_kernelIsiLj2106ELj9EEvPT_PT0_.num_agpr, 0
	.set _Z25blocked_to_striped_kernelIsiLj2106ELj9EEvPT_PT0_.numbered_sgpr, 8
	.set _Z25blocked_to_striped_kernelIsiLj2106ELj9EEvPT_PT0_.num_named_barrier, 0
	.set _Z25blocked_to_striped_kernelIsiLj2106ELj9EEvPT_PT0_.private_seg_size, 0
	.set _Z25blocked_to_striped_kernelIsiLj2106ELj9EEvPT_PT0_.uses_vcc, 0
	.set _Z25blocked_to_striped_kernelIsiLj2106ELj9EEvPT_PT0_.uses_flat_scratch, 0
	.set _Z25blocked_to_striped_kernelIsiLj2106ELj9EEvPT_PT0_.has_dyn_sized_stack, 0
	.set _Z25blocked_to_striped_kernelIsiLj2106ELj9EEvPT_PT0_.has_recursion, 0
	.set _Z25blocked_to_striped_kernelIsiLj2106ELj9EEvPT_PT0_.has_indirect_call, 0
	.section	.AMDGPU.csdata,"",@progbits
; Kernel info:
; codeLenInByte = 292
; TotalNumSgprs: 8
; NumVgprs: 11
; ScratchSize: 0
; MemoryBound: 0
; FloatMode: 240
; IeeeMode: 1
; LDSByteSize: 4224 bytes/workgroup (compile time only)
; SGPRBlocks: 0
; VGPRBlocks: 0
; NumSGPRsForWavesPerEU: 8
; NumVGPRsForWavesPerEU: 11
; NamedBarCnt: 0
; Occupancy: 16
; WaveLimiterHint : 0
; COMPUTE_PGM_RSRC2:SCRATCH_EN: 0
; COMPUTE_PGM_RSRC2:USER_SGPR: 2
; COMPUTE_PGM_RSRC2:TRAP_HANDLER: 0
; COMPUTE_PGM_RSRC2:TGID_X_EN: 1
; COMPUTE_PGM_RSRC2:TGID_Y_EN: 0
; COMPUTE_PGM_RSRC2:TGID_Z_EN: 0
; COMPUTE_PGM_RSRC2:TIDIG_COMP_CNT: 0
	.section	.text._Z25blocked_to_striped_kernelItjLj300ELj3EEvPT_PT0_,"axG",@progbits,_Z25blocked_to_striped_kernelItjLj300ELj3EEvPT_PT0_,comdat
	.protected	_Z25blocked_to_striped_kernelItjLj300ELj3EEvPT_PT0_ ; -- Begin function _Z25blocked_to_striped_kernelItjLj300ELj3EEvPT_PT0_
	.globl	_Z25blocked_to_striped_kernelItjLj300ELj3EEvPT_PT0_
	.p2align	8
	.type	_Z25blocked_to_striped_kernelItjLj300ELj3EEvPT_PT0_,@function
_Z25blocked_to_striped_kernelItjLj300ELj3EEvPT_PT0_: ; @_Z25blocked_to_striped_kernelItjLj300ELj3EEvPT_PT0_
; %bb.0:
	s_load_b128 s[0:3], s[0:1], 0x0
	s_bfe_u32 s4, ttmp6, 0x4000c
	s_and_b32 s5, ttmp6, 15
	s_add_co_i32 s4, s4, 1
	s_getreg_b32 s6, hwreg(HW_REG_IB_STS2, 6, 4)
	s_mul_i32 s4, ttmp9, s4
	v_mul_u32_u24_e32 v3, 3, v0
	s_add_co_i32 s5, s5, s4
	s_cmp_eq_u32 s6, 0
	v_lshlrev_b32_e32 v0, 2, v0
	s_cselect_b32 s4, ttmp9, s5
	s_mov_b32 s5, 0
	s_mulk_i32 s4, 0x12c
	v_lshlrev_b32_e32 v1, 1, v3
	s_lshl_b64 s[6:7], s[4:5], 1
	s_delay_alu instid0(VALU_DEP_1)
	v_sub_nc_u32_e32 v5, v1, v0
	s_wait_kmcnt 0x0
	s_add_nc_u64 s[0:1], s[0:1], s[6:7]
	s_clause 0x1
	global_load_b32 v2, v1, s[0:1]
	global_load_u16 v4, v3, s[0:1] offset:4 scale_offset
	s_wait_xcnt 0x0
	v_lshlrev_b32_e32 v3, 2, v3
	s_lshl_b64 s[0:1], s[4:5], 2
	s_wait_loadcnt 0x1
	ds_store_b32 v1, v2
	s_wait_loadcnt 0x0
	ds_store_b16 v1, v4 offset:4
	s_wait_dscnt 0x0
	s_barrier_signal -1
	s_barrier_wait -1
	ds_load_u16 v0, v5
	ds_load_u16 v1, v5 offset:200
	ds_load_u16 v2, v5 offset:400
	s_add_nc_u64 s[0:1], s[2:3], s[0:1]
	s_wait_dscnt 0x0
	global_store_b96 v3, v[0:2], s[0:1]
	s_endpgm
	.section	.rodata,"a",@progbits
	.p2align	6, 0x0
	.amdhsa_kernel _Z25blocked_to_striped_kernelItjLj300ELj3EEvPT_PT0_
		.amdhsa_group_segment_fixed_size 608
		.amdhsa_private_segment_fixed_size 0
		.amdhsa_kernarg_size 16
		.amdhsa_user_sgpr_count 2
		.amdhsa_user_sgpr_dispatch_ptr 0
		.amdhsa_user_sgpr_queue_ptr 0
		.amdhsa_user_sgpr_kernarg_segment_ptr 1
		.amdhsa_user_sgpr_dispatch_id 0
		.amdhsa_user_sgpr_kernarg_preload_length 0
		.amdhsa_user_sgpr_kernarg_preload_offset 0
		.amdhsa_user_sgpr_private_segment_size 0
		.amdhsa_wavefront_size32 1
		.amdhsa_uses_dynamic_stack 0
		.amdhsa_enable_private_segment 0
		.amdhsa_system_sgpr_workgroup_id_x 1
		.amdhsa_system_sgpr_workgroup_id_y 0
		.amdhsa_system_sgpr_workgroup_id_z 0
		.amdhsa_system_sgpr_workgroup_info 0
		.amdhsa_system_vgpr_workitem_id 0
		.amdhsa_next_free_vgpr 6
		.amdhsa_next_free_sgpr 8
		.amdhsa_named_barrier_count 0
		.amdhsa_reserve_vcc 0
		.amdhsa_float_round_mode_32 0
		.amdhsa_float_round_mode_16_64 0
		.amdhsa_float_denorm_mode_32 3
		.amdhsa_float_denorm_mode_16_64 3
		.amdhsa_fp16_overflow 0
		.amdhsa_memory_ordered 1
		.amdhsa_forward_progress 1
		.amdhsa_inst_pref_size 2
		.amdhsa_round_robin_scheduling 0
		.amdhsa_exception_fp_ieee_invalid_op 0
		.amdhsa_exception_fp_denorm_src 0
		.amdhsa_exception_fp_ieee_div_zero 0
		.amdhsa_exception_fp_ieee_overflow 0
		.amdhsa_exception_fp_ieee_underflow 0
		.amdhsa_exception_fp_ieee_inexact 0
		.amdhsa_exception_int_div_zero 0
	.end_amdhsa_kernel
	.section	.text._Z25blocked_to_striped_kernelItjLj300ELj3EEvPT_PT0_,"axG",@progbits,_Z25blocked_to_striped_kernelItjLj300ELj3EEvPT_PT0_,comdat
.Lfunc_end1:
	.size	_Z25blocked_to_striped_kernelItjLj300ELj3EEvPT_PT0_, .Lfunc_end1-_Z25blocked_to_striped_kernelItjLj300ELj3EEvPT_PT0_
                                        ; -- End function
	.set _Z25blocked_to_striped_kernelItjLj300ELj3EEvPT_PT0_.num_vgpr, 6
	.set _Z25blocked_to_striped_kernelItjLj300ELj3EEvPT_PT0_.num_agpr, 0
	.set _Z25blocked_to_striped_kernelItjLj300ELj3EEvPT_PT0_.numbered_sgpr, 8
	.set _Z25blocked_to_striped_kernelItjLj300ELj3EEvPT_PT0_.num_named_barrier, 0
	.set _Z25blocked_to_striped_kernelItjLj300ELj3EEvPT_PT0_.private_seg_size, 0
	.set _Z25blocked_to_striped_kernelItjLj300ELj3EEvPT_PT0_.uses_vcc, 0
	.set _Z25blocked_to_striped_kernelItjLj300ELj3EEvPT_PT0_.uses_flat_scratch, 0
	.set _Z25blocked_to_striped_kernelItjLj300ELj3EEvPT_PT0_.has_dyn_sized_stack, 0
	.set _Z25blocked_to_striped_kernelItjLj300ELj3EEvPT_PT0_.has_recursion, 0
	.set _Z25blocked_to_striped_kernelItjLj300ELj3EEvPT_PT0_.has_indirect_call, 0
	.section	.AMDGPU.csdata,"",@progbits
; Kernel info:
; codeLenInByte = 208
; TotalNumSgprs: 8
; NumVgprs: 6
; ScratchSize: 0
; MemoryBound: 0
; FloatMode: 240
; IeeeMode: 1
; LDSByteSize: 608 bytes/workgroup (compile time only)
; SGPRBlocks: 0
; VGPRBlocks: 0
; NumSGPRsForWavesPerEU: 8
; NumVGPRsForWavesPerEU: 6
; NamedBarCnt: 0
; Occupancy: 16
; WaveLimiterHint : 0
; COMPUTE_PGM_RSRC2:SCRATCH_EN: 0
; COMPUTE_PGM_RSRC2:USER_SGPR: 2
; COMPUTE_PGM_RSRC2:TRAP_HANDLER: 0
; COMPUTE_PGM_RSRC2:TGID_X_EN: 1
; COMPUTE_PGM_RSRC2:TGID_Y_EN: 0
; COMPUTE_PGM_RSRC2:TGID_Z_EN: 0
; COMPUTE_PGM_RSRC2:TIDIG_COMP_CNT: 0
	.section	.text._Z25blocked_to_striped_kernelIc5dummyIdELj928ELj2EEvPT_PT0_,"axG",@progbits,_Z25blocked_to_striped_kernelIc5dummyIdELj928ELj2EEvPT_PT0_,comdat
	.protected	_Z25blocked_to_striped_kernelIc5dummyIdELj928ELj2EEvPT_PT0_ ; -- Begin function _Z25blocked_to_striped_kernelIc5dummyIdELj928ELj2EEvPT_PT0_
	.globl	_Z25blocked_to_striped_kernelIc5dummyIdELj928ELj2EEvPT_PT0_
	.p2align	8
	.type	_Z25blocked_to_striped_kernelIc5dummyIdELj928ELj2EEvPT_PT0_,@function
_Z25blocked_to_striped_kernelIc5dummyIdELj928ELj2EEvPT_PT0_: ; @_Z25blocked_to_striped_kernelIc5dummyIdELj928ELj2EEvPT_PT0_
; %bb.0:
	s_load_b128 s[0:3], s[0:1], 0x0
	s_bfe_u32 s4, ttmp6, 0x4000c
	s_and_b32 s5, ttmp6, 15
	s_add_co_i32 s4, s4, 1
	s_getreg_b32 s6, hwreg(HW_REG_IB_STS2, 6, 4)
	s_mul_i32 s4, ttmp9, s4
	v_add_nc_u32_e32 v2, 0x1d0, v0
	s_add_co_i32 s5, s5, s4
	s_cmp_eq_u32 s6, 0
	v_dual_lshrrev_b32 v3, 4, v0 :: v_dual_lshrrev_b32 v4, 5, v0
	s_cselect_b32 s4, ttmp9, s5
	s_mov_b32 s5, 0
	s_mulk_i32 s4, 0x3a0
	s_delay_alu instid0(VALU_DEP_1) | instskip(SKIP_1) | instid1(VALU_DEP_2)
	v_dual_lshrrev_b32 v2, 5, v2 :: v_dual_bitop2_b32 v3, 28, v3 bitop3:0x40
	v_and_b32_e32 v4, 12, v4
	v_and_b32_e32 v2, 28, v2
	s_wait_kmcnt 0x0
	s_add_nc_u64 s[0:1], s[0:1], s[4:5]
	v_lshl_add_u32 v3, v0, 1, v3
	global_load_u16 v1, v0, s[0:1] scale_offset
	v_dual_add_nc_u32 v4, v4, v0 :: v_dual_add_nc_u32 v2, v2, v0
	s_wait_xcnt 0x0
	v_lshlrev_b32_e32 v0, 5, v0
	s_lshl_b64 s[0:1], s[4:5], 4
	s_delay_alu instid0(SALU_CYCLE_1)
	s_add_nc_u64 s[0:1], s[2:3], s[0:1]
	s_wait_loadcnt 0x0
	ds_store_b16 v3, v1
	s_wait_dscnt 0x0
	s_barrier_signal -1
	s_barrier_wait -1
	ds_load_i8 v1, v4
	ds_load_i8 v2, v2 offset:464
	s_wait_dscnt 0x1
	v_dual_add_nc_u32 v3, 1, v1 :: v_dual_lshlrev_b32 v1, 1, v1
	s_wait_dscnt 0x0
	v_dual_add_nc_u32 v6, 1, v2 :: v_dual_lshlrev_b32 v8, 1, v2
	s_delay_alu instid0(VALU_DEP_2) | instskip(NEXT) | instid1(VALU_DEP_3)
	v_cvt_f64_i32_e32 v[2:3], v3
	v_cvt_f64_i32_e32 v[4:5], v1
	s_delay_alu instid0(VALU_DEP_3) | instskip(NEXT) | instid1(VALU_DEP_4)
	v_cvt_f64_i32_e32 v[6:7], v6
	v_cvt_f64_i32_e32 v[8:9], v8
	s_clause 0x1
	global_store_b128 v0, v[2:5], s[0:1]
	global_store_b128 v0, v[6:9], s[0:1] offset:16
	s_endpgm
	.section	.rodata,"a",@progbits
	.p2align	6, 0x0
	.amdhsa_kernel _Z25blocked_to_striped_kernelIc5dummyIdELj928ELj2EEvPT_PT0_
		.amdhsa_group_segment_fixed_size 960
		.amdhsa_private_segment_fixed_size 0
		.amdhsa_kernarg_size 16
		.amdhsa_user_sgpr_count 2
		.amdhsa_user_sgpr_dispatch_ptr 0
		.amdhsa_user_sgpr_queue_ptr 0
		.amdhsa_user_sgpr_kernarg_segment_ptr 1
		.amdhsa_user_sgpr_dispatch_id 0
		.amdhsa_user_sgpr_kernarg_preload_length 0
		.amdhsa_user_sgpr_kernarg_preload_offset 0
		.amdhsa_user_sgpr_private_segment_size 0
		.amdhsa_wavefront_size32 1
		.amdhsa_uses_dynamic_stack 0
		.amdhsa_enable_private_segment 0
		.amdhsa_system_sgpr_workgroup_id_x 1
		.amdhsa_system_sgpr_workgroup_id_y 0
		.amdhsa_system_sgpr_workgroup_id_z 0
		.amdhsa_system_sgpr_workgroup_info 0
		.amdhsa_system_vgpr_workitem_id 0
		.amdhsa_next_free_vgpr 10
		.amdhsa_next_free_sgpr 7
		.amdhsa_named_barrier_count 0
		.amdhsa_reserve_vcc 0
		.amdhsa_float_round_mode_32 0
		.amdhsa_float_round_mode_16_64 0
		.amdhsa_float_denorm_mode_32 3
		.amdhsa_float_denorm_mode_16_64 3
		.amdhsa_fp16_overflow 0
		.amdhsa_memory_ordered 1
		.amdhsa_forward_progress 1
		.amdhsa_inst_pref_size 3
		.amdhsa_round_robin_scheduling 0
		.amdhsa_exception_fp_ieee_invalid_op 0
		.amdhsa_exception_fp_denorm_src 0
		.amdhsa_exception_fp_ieee_div_zero 0
		.amdhsa_exception_fp_ieee_overflow 0
		.amdhsa_exception_fp_ieee_underflow 0
		.amdhsa_exception_fp_ieee_inexact 0
		.amdhsa_exception_int_div_zero 0
	.end_amdhsa_kernel
	.section	.text._Z25blocked_to_striped_kernelIc5dummyIdELj928ELj2EEvPT_PT0_,"axG",@progbits,_Z25blocked_to_striped_kernelIc5dummyIdELj928ELj2EEvPT_PT0_,comdat
.Lfunc_end2:
	.size	_Z25blocked_to_striped_kernelIc5dummyIdELj928ELj2EEvPT_PT0_, .Lfunc_end2-_Z25blocked_to_striped_kernelIc5dummyIdELj928ELj2EEvPT_PT0_
                                        ; -- End function
	.set _Z25blocked_to_striped_kernelIc5dummyIdELj928ELj2EEvPT_PT0_.num_vgpr, 10
	.set _Z25blocked_to_striped_kernelIc5dummyIdELj928ELj2EEvPT_PT0_.num_agpr, 0
	.set _Z25blocked_to_striped_kernelIc5dummyIdELj928ELj2EEvPT_PT0_.numbered_sgpr, 7
	.set _Z25blocked_to_striped_kernelIc5dummyIdELj928ELj2EEvPT_PT0_.num_named_barrier, 0
	.set _Z25blocked_to_striped_kernelIc5dummyIdELj928ELj2EEvPT_PT0_.private_seg_size, 0
	.set _Z25blocked_to_striped_kernelIc5dummyIdELj928ELj2EEvPT_PT0_.uses_vcc, 0
	.set _Z25blocked_to_striped_kernelIc5dummyIdELj928ELj2EEvPT_PT0_.uses_flat_scratch, 0
	.set _Z25blocked_to_striped_kernelIc5dummyIdELj928ELj2EEvPT_PT0_.has_dyn_sized_stack, 0
	.set _Z25blocked_to_striped_kernelIc5dummyIdELj928ELj2EEvPT_PT0_.has_recursion, 0
	.set _Z25blocked_to_striped_kernelIc5dummyIdELj928ELj2EEvPT_PT0_.has_indirect_call, 0
	.section	.AMDGPU.csdata,"",@progbits
; Kernel info:
; codeLenInByte = 284
; TotalNumSgprs: 7
; NumVgprs: 10
; ScratchSize: 0
; MemoryBound: 0
; FloatMode: 240
; IeeeMode: 1
; LDSByteSize: 960 bytes/workgroup (compile time only)
; SGPRBlocks: 0
; VGPRBlocks: 0
; NumSGPRsForWavesPerEU: 7
; NumVGPRsForWavesPerEU: 10
; NamedBarCnt: 0
; Occupancy: 16
; WaveLimiterHint : 0
; COMPUTE_PGM_RSRC2:SCRATCH_EN: 0
; COMPUTE_PGM_RSRC2:USER_SGPR: 2
; COMPUTE_PGM_RSRC2:TRAP_HANDLER: 0
; COMPUTE_PGM_RSRC2:TGID_X_EN: 1
; COMPUTE_PGM_RSRC2:TGID_Y_EN: 0
; COMPUTE_PGM_RSRC2:TGID_Z_EN: 0
; COMPUTE_PGM_RSRC2:TIDIG_COMP_CNT: 0
	.section	.text._Z25blocked_to_striped_kernelIfiLj165ELj5EEvPT_PT0_,"axG",@progbits,_Z25blocked_to_striped_kernelIfiLj165ELj5EEvPT_PT0_,comdat
	.protected	_Z25blocked_to_striped_kernelIfiLj165ELj5EEvPT_PT0_ ; -- Begin function _Z25blocked_to_striped_kernelIfiLj165ELj5EEvPT_PT0_
	.globl	_Z25blocked_to_striped_kernelIfiLj165ELj5EEvPT_PT0_
	.p2align	8
	.type	_Z25blocked_to_striped_kernelIfiLj165ELj5EEvPT_PT0_,@function
_Z25blocked_to_striped_kernelIfiLj165ELj5EEvPT_PT0_: ; @_Z25blocked_to_striped_kernelIfiLj165ELj5EEvPT_PT0_
; %bb.0:
	s_load_b128 s[0:3], s[0:1], 0x0
	s_bfe_u32 s4, ttmp6, 0x4000c
	s_and_b32 s5, ttmp6, 15
	s_add_co_i32 s4, s4, 1
	s_getreg_b32 s6, hwreg(HW_REG_IB_STS2, 6, 4)
	s_mul_i32 s4, ttmp9, s4
	v_mul_u32_u24_e32 v6, 5, v0
	s_add_co_i32 s5, s5, s4
	s_cmp_eq_u32 s6, 0
	v_lshlrev_b32_e32 v0, 4, v0
	s_cselect_b32 s4, ttmp9, s5
	s_mov_b32 s5, 0
	s_mulk_i32 s4, 0xa5
	v_lshlrev_b32_e32 v7, 2, v6
	s_lshl_b64 s[4:5], s[4:5], 2
	s_delay_alu instid0(VALU_DEP_1)
	v_sub_nc_u32_e32 v8, v7, v0
	s_wait_kmcnt 0x0
	s_add_nc_u64 s[0:1], s[0:1], s[4:5]
	s_clause 0x1
	global_load_b128 v[2:5], v7, s[0:1]
	global_load_b32 v1, v6, s[0:1] offset:16 scale_offset
	s_wait_xcnt 0x0
	s_add_nc_u64 s[0:1], s[2:3], s[4:5]
	s_wait_loadcnt 0x1
	ds_store_2addr_b32 v7, v2, v3 offset1:1
	ds_store_2addr_b32 v7, v4, v5 offset0:2 offset1:3
	s_wait_loadcnt 0x0
	ds_store_b32 v7, v1 offset:16
	s_wait_dscnt 0x0
	s_barrier_signal -1
	s_barrier_wait -1
	ds_load_2addr_b32 v[0:1], v8 offset1:33
	ds_load_2addr_b32 v[2:3], v8 offset0:66 offset1:99
	ds_load_b32 v4, v8 offset:528
	s_wait_dscnt 0x2
	v_cvt_i32_f32_e32 v1, v1
	v_cvt_i32_f32_e32 v0, v0
	s_wait_dscnt 0x1
	v_cvt_i32_f32_e32 v3, v3
	v_cvt_i32_f32_e32 v2, v2
	s_wait_dscnt 0x0
	v_cvt_i32_f32_e32 v4, v4
	s_clause 0x1
	global_store_b128 v7, v[0:3], s[0:1]
	global_store_b32 v6, v4, s[0:1] offset:16 scale_offset
	s_endpgm
	.section	.rodata,"a",@progbits
	.p2align	6, 0x0
	.amdhsa_kernel _Z25blocked_to_striped_kernelIfiLj165ELj5EEvPT_PT0_
		.amdhsa_group_segment_fixed_size 672
		.amdhsa_private_segment_fixed_size 0
		.amdhsa_kernarg_size 16
		.amdhsa_user_sgpr_count 2
		.amdhsa_user_sgpr_dispatch_ptr 0
		.amdhsa_user_sgpr_queue_ptr 0
		.amdhsa_user_sgpr_kernarg_segment_ptr 1
		.amdhsa_user_sgpr_dispatch_id 0
		.amdhsa_user_sgpr_kernarg_preload_length 0
		.amdhsa_user_sgpr_kernarg_preload_offset 0
		.amdhsa_user_sgpr_private_segment_size 0
		.amdhsa_wavefront_size32 1
		.amdhsa_uses_dynamic_stack 0
		.amdhsa_enable_private_segment 0
		.amdhsa_system_sgpr_workgroup_id_x 1
		.amdhsa_system_sgpr_workgroup_id_y 0
		.amdhsa_system_sgpr_workgroup_id_z 0
		.amdhsa_system_sgpr_workgroup_info 0
		.amdhsa_system_vgpr_workitem_id 0
		.amdhsa_next_free_vgpr 9
		.amdhsa_next_free_sgpr 7
		.amdhsa_named_barrier_count 0
		.amdhsa_reserve_vcc 0
		.amdhsa_float_round_mode_32 0
		.amdhsa_float_round_mode_16_64 0
		.amdhsa_float_denorm_mode_32 3
		.amdhsa_float_denorm_mode_16_64 3
		.amdhsa_fp16_overflow 0
		.amdhsa_memory_ordered 1
		.amdhsa_forward_progress 1
		.amdhsa_inst_pref_size 2
		.amdhsa_round_robin_scheduling 0
		.amdhsa_exception_fp_ieee_invalid_op 0
		.amdhsa_exception_fp_denorm_src 0
		.amdhsa_exception_fp_ieee_div_zero 0
		.amdhsa_exception_fp_ieee_overflow 0
		.amdhsa_exception_fp_ieee_underflow 0
		.amdhsa_exception_fp_ieee_inexact 0
		.amdhsa_exception_int_div_zero 0
	.end_amdhsa_kernel
	.section	.text._Z25blocked_to_striped_kernelIfiLj165ELj5EEvPT_PT0_,"axG",@progbits,_Z25blocked_to_striped_kernelIfiLj165ELj5EEvPT_PT0_,comdat
.Lfunc_end3:
	.size	_Z25blocked_to_striped_kernelIfiLj165ELj5EEvPT_PT0_, .Lfunc_end3-_Z25blocked_to_striped_kernelIfiLj165ELj5EEvPT_PT0_
                                        ; -- End function
	.set _Z25blocked_to_striped_kernelIfiLj165ELj5EEvPT_PT0_.num_vgpr, 9
	.set _Z25blocked_to_striped_kernelIfiLj165ELj5EEvPT_PT0_.num_agpr, 0
	.set _Z25blocked_to_striped_kernelIfiLj165ELj5EEvPT_PT0_.numbered_sgpr, 7
	.set _Z25blocked_to_striped_kernelIfiLj165ELj5EEvPT_PT0_.num_named_barrier, 0
	.set _Z25blocked_to_striped_kernelIfiLj165ELj5EEvPT_PT0_.private_seg_size, 0
	.set _Z25blocked_to_striped_kernelIfiLj165ELj5EEvPT_PT0_.uses_vcc, 0
	.set _Z25blocked_to_striped_kernelIfiLj165ELj5EEvPT_PT0_.uses_flat_scratch, 0
	.set _Z25blocked_to_striped_kernelIfiLj165ELj5EEvPT_PT0_.has_dyn_sized_stack, 0
	.set _Z25blocked_to_striped_kernelIfiLj165ELj5EEvPT_PT0_.has_recursion, 0
	.set _Z25blocked_to_striped_kernelIfiLj165ELj5EEvPT_PT0_.has_indirect_call, 0
	.section	.AMDGPU.csdata,"",@progbits
; Kernel info:
; codeLenInByte = 252
; TotalNumSgprs: 7
; NumVgprs: 9
; ScratchSize: 0
; MemoryBound: 0
; FloatMode: 240
; IeeeMode: 1
; LDSByteSize: 672 bytes/workgroup (compile time only)
; SGPRBlocks: 0
; VGPRBlocks: 0
; NumSGPRsForWavesPerEU: 7
; NumVGPRsForWavesPerEU: 9
; NamedBarCnt: 0
; Occupancy: 16
; WaveLimiterHint : 0
; COMPUTE_PGM_RSRC2:SCRATCH_EN: 0
; COMPUTE_PGM_RSRC2:USER_SGPR: 2
; COMPUTE_PGM_RSRC2:TRAP_HANDLER: 0
; COMPUTE_PGM_RSRC2:TGID_X_EN: 1
; COMPUTE_PGM_RSRC2:TGID_Y_EN: 0
; COMPUTE_PGM_RSRC2:TGID_Z_EN: 0
; COMPUTE_PGM_RSRC2:TIDIG_COMP_CNT: 0
	.section	.text._Z25blocked_to_striped_kernelIidLj165ELj5EEvPT_PT0_,"axG",@progbits,_Z25blocked_to_striped_kernelIidLj165ELj5EEvPT_PT0_,comdat
	.protected	_Z25blocked_to_striped_kernelIidLj165ELj5EEvPT_PT0_ ; -- Begin function _Z25blocked_to_striped_kernelIidLj165ELj5EEvPT_PT0_
	.globl	_Z25blocked_to_striped_kernelIidLj165ELj5EEvPT_PT0_
	.p2align	8
	.type	_Z25blocked_to_striped_kernelIidLj165ELj5EEvPT_PT0_,@function
_Z25blocked_to_striped_kernelIidLj165ELj5EEvPT_PT0_: ; @_Z25blocked_to_striped_kernelIidLj165ELj5EEvPT_PT0_
; %bb.0:
	s_load_b128 s[0:3], s[0:1], 0x0
	s_bfe_u32 s4, ttmp6, 0x4000c
	s_and_b32 s5, ttmp6, 15
	s_add_co_i32 s4, s4, 1
	s_getreg_b32 s6, hwreg(HW_REG_IB_STS2, 6, 4)
	s_mul_i32 s4, ttmp9, s4
	v_mul_u32_u24_e32 v10, 5, v0
	s_add_co_i32 s5, s5, s4
	s_cmp_eq_u32 s6, 0
	v_lshlrev_b32_e32 v0, 4, v0
	s_cselect_b32 s4, ttmp9, s5
	s_mov_b32 s5, 0
	s_mulk_i32 s4, 0xa5
	v_lshlrev_b32_e32 v1, 2, v10
	s_lshl_b64 s[6:7], s[4:5], 2
	s_delay_alu instid0(VALU_DEP_1)
	v_dual_lshlrev_b32 v11, 3, v10 :: v_dual_sub_nc_u32 v0, v1, v0
	s_wait_kmcnt 0x0
	s_add_nc_u64 s[0:1], s[0:1], s[6:7]
	s_clause 0x1
	global_load_b128 v[2:5], v1, s[0:1]
	global_load_b32 v6, v10, s[0:1] offset:16 scale_offset
	s_wait_xcnt 0x0
	s_lshl_b64 s[0:1], s[4:5], 3
	s_wait_loadcnt 0x1
	ds_store_2addr_b32 v1, v2, v3 offset1:1
	ds_store_2addr_b32 v1, v4, v5 offset0:2 offset1:3
	s_wait_loadcnt 0x0
	ds_store_b32 v1, v6 offset:16
	s_wait_dscnt 0x0
	s_barrier_signal -1
	s_barrier_wait -1
	ds_load_2addr_b32 v[2:3], v0 offset1:33
	ds_load_2addr_b32 v[6:7], v0 offset0:66 offset1:99
	ds_load_b32 v8, v0 offset:528
	s_add_nc_u64 s[0:1], s[2:3], s[0:1]
	s_wait_dscnt 0x2
	v_cvt_f64_i32_e32 v[0:1], v2
	s_wait_dscnt 0x1
	v_cvt_f64_i32_e32 v[4:5], v6
	v_cvt_f64_i32_e32 v[6:7], v7
	;; [unrolled: 1-line block ×3, first 2 shown]
	s_wait_dscnt 0x0
	v_cvt_f64_i32_e32 v[8:9], v8
	s_clause 0x2
	global_store_b128 v11, v[4:7], s[0:1] offset:16
	global_store_b128 v11, v[0:3], s[0:1]
	global_store_b64 v10, v[8:9], s[0:1] offset:32 scale_offset
	s_endpgm
	.section	.rodata,"a",@progbits
	.p2align	6, 0x0
	.amdhsa_kernel _Z25blocked_to_striped_kernelIidLj165ELj5EEvPT_PT0_
		.amdhsa_group_segment_fixed_size 672
		.amdhsa_private_segment_fixed_size 0
		.amdhsa_kernarg_size 16
		.amdhsa_user_sgpr_count 2
		.amdhsa_user_sgpr_dispatch_ptr 0
		.amdhsa_user_sgpr_queue_ptr 0
		.amdhsa_user_sgpr_kernarg_segment_ptr 1
		.amdhsa_user_sgpr_dispatch_id 0
		.amdhsa_user_sgpr_kernarg_preload_length 0
		.amdhsa_user_sgpr_kernarg_preload_offset 0
		.amdhsa_user_sgpr_private_segment_size 0
		.amdhsa_wavefront_size32 1
		.amdhsa_uses_dynamic_stack 0
		.amdhsa_enable_private_segment 0
		.amdhsa_system_sgpr_workgroup_id_x 1
		.amdhsa_system_sgpr_workgroup_id_y 0
		.amdhsa_system_sgpr_workgroup_id_z 0
		.amdhsa_system_sgpr_workgroup_info 0
		.amdhsa_system_vgpr_workitem_id 0
		.amdhsa_next_free_vgpr 12
		.amdhsa_next_free_sgpr 8
		.amdhsa_named_barrier_count 0
		.amdhsa_reserve_vcc 0
		.amdhsa_float_round_mode_32 0
		.amdhsa_float_round_mode_16_64 0
		.amdhsa_float_denorm_mode_32 3
		.amdhsa_float_denorm_mode_16_64 3
		.amdhsa_fp16_overflow 0
		.amdhsa_memory_ordered 1
		.amdhsa_forward_progress 1
		.amdhsa_inst_pref_size 3
		.amdhsa_round_robin_scheduling 0
		.amdhsa_exception_fp_ieee_invalid_op 0
		.amdhsa_exception_fp_denorm_src 0
		.amdhsa_exception_fp_ieee_div_zero 0
		.amdhsa_exception_fp_ieee_overflow 0
		.amdhsa_exception_fp_ieee_underflow 0
		.amdhsa_exception_fp_ieee_inexact 0
		.amdhsa_exception_int_div_zero 0
	.end_amdhsa_kernel
	.section	.text._Z25blocked_to_striped_kernelIidLj165ELj5EEvPT_PT0_,"axG",@progbits,_Z25blocked_to_striped_kernelIidLj165ELj5EEvPT_PT0_,comdat
.Lfunc_end4:
	.size	_Z25blocked_to_striped_kernelIidLj165ELj5EEvPT_PT0_, .Lfunc_end4-_Z25blocked_to_striped_kernelIidLj165ELj5EEvPT_PT0_
                                        ; -- End function
	.set _Z25blocked_to_striped_kernelIidLj165ELj5EEvPT_PT0_.num_vgpr, 12
	.set _Z25blocked_to_striped_kernelIidLj165ELj5EEvPT_PT0_.num_agpr, 0
	.set _Z25blocked_to_striped_kernelIidLj165ELj5EEvPT_PT0_.numbered_sgpr, 8
	.set _Z25blocked_to_striped_kernelIidLj165ELj5EEvPT_PT0_.num_named_barrier, 0
	.set _Z25blocked_to_striped_kernelIidLj165ELj5EEvPT_PT0_.private_seg_size, 0
	.set _Z25blocked_to_striped_kernelIidLj165ELj5EEvPT_PT0_.uses_vcc, 0
	.set _Z25blocked_to_striped_kernelIidLj165ELj5EEvPT_PT0_.uses_flat_scratch, 0
	.set _Z25blocked_to_striped_kernelIidLj165ELj5EEvPT_PT0_.has_dyn_sized_stack, 0
	.set _Z25blocked_to_striped_kernelIidLj165ELj5EEvPT_PT0_.has_recursion, 0
	.set _Z25blocked_to_striped_kernelIidLj165ELj5EEvPT_PT0_.has_indirect_call, 0
	.section	.AMDGPU.csdata,"",@progbits
; Kernel info:
; codeLenInByte = 276
; TotalNumSgprs: 8
; NumVgprs: 12
; ScratchSize: 0
; MemoryBound: 0
; FloatMode: 240
; IeeeMode: 1
; LDSByteSize: 672 bytes/workgroup (compile time only)
; SGPRBlocks: 0
; VGPRBlocks: 0
; NumSGPRsForWavesPerEU: 8
; NumVGPRsForWavesPerEU: 12
; NamedBarCnt: 0
; Occupancy: 16
; WaveLimiterHint : 0
; COMPUTE_PGM_RSRC2:SCRATCH_EN: 0
; COMPUTE_PGM_RSRC2:USER_SGPR: 2
; COMPUTE_PGM_RSRC2:TRAP_HANDLER: 0
; COMPUTE_PGM_RSRC2:TGID_X_EN: 1
; COMPUTE_PGM_RSRC2:TGID_Y_EN: 0
; COMPUTE_PGM_RSRC2:TGID_Z_EN: 0
; COMPUTE_PGM_RSRC2:TIDIG_COMP_CNT: 0
	.section	.text._Z25blocked_to_striped_kernelIyyLj192ELj3EEvPT_PT0_,"axG",@progbits,_Z25blocked_to_striped_kernelIyyLj192ELj3EEvPT_PT0_,comdat
	.protected	_Z25blocked_to_striped_kernelIyyLj192ELj3EEvPT_PT0_ ; -- Begin function _Z25blocked_to_striped_kernelIyyLj192ELj3EEvPT_PT0_
	.globl	_Z25blocked_to_striped_kernelIyyLj192ELj3EEvPT_PT0_
	.p2align	8
	.type	_Z25blocked_to_striped_kernelIyyLj192ELj3EEvPT_PT0_,@function
_Z25blocked_to_striped_kernelIyyLj192ELj3EEvPT_PT0_: ; @_Z25blocked_to_striped_kernelIyyLj192ELj3EEvPT_PT0_
; %bb.0:
	s_load_b128 s[0:3], s[0:1], 0x0
	s_bfe_u32 s4, ttmp6, 0x4000c
	s_and_b32 s5, ttmp6, 15
	s_add_co_i32 s4, s4, 1
	s_getreg_b32 s6, hwreg(HW_REG_IB_STS2, 6, 4)
	s_mul_i32 s4, ttmp9, s4
	v_mul_u32_u24_e32 v8, 3, v0
	s_add_co_i32 s5, s5, s4
	s_cmp_eq_u32 s6, 0
	v_lshlrev_b32_e32 v0, 4, v0
	s_cselect_b32 s4, ttmp9, s5
	s_mov_b32 s5, 0
	s_mulk_i32 s4, 0xc0
	v_lshlrev_b32_e32 v9, 3, v8
	s_lshl_b64 s[4:5], s[4:5], 3
	s_delay_alu instid0(VALU_DEP_1)
	v_sub_nc_u32_e32 v10, v9, v0
	s_wait_kmcnt 0x0
	s_add_nc_u64 s[0:1], s[0:1], s[4:5]
	s_clause 0x1
	global_load_b128 v[2:5], v9, s[0:1]
	global_load_b64 v[6:7], v8, s[0:1] offset:16 scale_offset
	s_wait_xcnt 0x0
	s_add_nc_u64 s[0:1], s[2:3], s[4:5]
	s_wait_loadcnt 0x1
	ds_store_2addr_b64 v9, v[2:3], v[4:5] offset1:1
	s_wait_loadcnt 0x0
	ds_store_b64 v9, v[6:7] offset:16
	s_wait_dscnt 0x0
	s_barrier_signal -1
	s_barrier_wait -1
	ds_load_2addr_stride64_b64 v[0:3], v10 offset1:1
	ds_load_b64 v[4:5], v10 offset:1024
	s_wait_dscnt 0x1
	global_store_b128 v9, v[0:3], s[0:1]
	s_wait_dscnt 0x0
	global_store_b64 v8, v[4:5], s[0:1] offset:16 scale_offset
	s_endpgm
	.section	.rodata,"a",@progbits
	.p2align	6, 0x0
	.amdhsa_kernel _Z25blocked_to_striped_kernelIyyLj192ELj3EEvPT_PT0_
		.amdhsa_group_segment_fixed_size 1536
		.amdhsa_private_segment_fixed_size 0
		.amdhsa_kernarg_size 16
		.amdhsa_user_sgpr_count 2
		.amdhsa_user_sgpr_dispatch_ptr 0
		.amdhsa_user_sgpr_queue_ptr 0
		.amdhsa_user_sgpr_kernarg_segment_ptr 1
		.amdhsa_user_sgpr_dispatch_id 0
		.amdhsa_user_sgpr_kernarg_preload_length 0
		.amdhsa_user_sgpr_kernarg_preload_offset 0
		.amdhsa_user_sgpr_private_segment_size 0
		.amdhsa_wavefront_size32 1
		.amdhsa_uses_dynamic_stack 0
		.amdhsa_enable_private_segment 0
		.amdhsa_system_sgpr_workgroup_id_x 1
		.amdhsa_system_sgpr_workgroup_id_y 0
		.amdhsa_system_sgpr_workgroup_id_z 0
		.amdhsa_system_sgpr_workgroup_info 0
		.amdhsa_system_vgpr_workitem_id 0
		.amdhsa_next_free_vgpr 11
		.amdhsa_next_free_sgpr 7
		.amdhsa_named_barrier_count 0
		.amdhsa_reserve_vcc 0
		.amdhsa_float_round_mode_32 0
		.amdhsa_float_round_mode_16_64 0
		.amdhsa_float_denorm_mode_32 3
		.amdhsa_float_denorm_mode_16_64 3
		.amdhsa_fp16_overflow 0
		.amdhsa_memory_ordered 1
		.amdhsa_forward_progress 1
		.amdhsa_inst_pref_size 2
		.amdhsa_round_robin_scheduling 0
		.amdhsa_exception_fp_ieee_invalid_op 0
		.amdhsa_exception_fp_denorm_src 0
		.amdhsa_exception_fp_ieee_div_zero 0
		.amdhsa_exception_fp_ieee_overflow 0
		.amdhsa_exception_fp_ieee_underflow 0
		.amdhsa_exception_fp_ieee_inexact 0
		.amdhsa_exception_int_div_zero 0
	.end_amdhsa_kernel
	.section	.text._Z25blocked_to_striped_kernelIyyLj192ELj3EEvPT_PT0_,"axG",@progbits,_Z25blocked_to_striped_kernelIyyLj192ELj3EEvPT_PT0_,comdat
.Lfunc_end5:
	.size	_Z25blocked_to_striped_kernelIyyLj192ELj3EEvPT_PT0_, .Lfunc_end5-_Z25blocked_to_striped_kernelIyyLj192ELj3EEvPT_PT0_
                                        ; -- End function
	.set _Z25blocked_to_striped_kernelIyyLj192ELj3EEvPT_PT0_.num_vgpr, 11
	.set _Z25blocked_to_striped_kernelIyyLj192ELj3EEvPT_PT0_.num_agpr, 0
	.set _Z25blocked_to_striped_kernelIyyLj192ELj3EEvPT_PT0_.numbered_sgpr, 7
	.set _Z25blocked_to_striped_kernelIyyLj192ELj3EEvPT_PT0_.num_named_barrier, 0
	.set _Z25blocked_to_striped_kernelIyyLj192ELj3EEvPT_PT0_.private_seg_size, 0
	.set _Z25blocked_to_striped_kernelIyyLj192ELj3EEvPT_PT0_.uses_vcc, 0
	.set _Z25blocked_to_striped_kernelIyyLj192ELj3EEvPT_PT0_.uses_flat_scratch, 0
	.set _Z25blocked_to_striped_kernelIyyLj192ELj3EEvPT_PT0_.has_dyn_sized_stack, 0
	.set _Z25blocked_to_striped_kernelIyyLj192ELj3EEvPT_PT0_.has_recursion, 0
	.set _Z25blocked_to_striped_kernelIyyLj192ELj3EEvPT_PT0_.has_indirect_call, 0
	.section	.AMDGPU.csdata,"",@progbits
; Kernel info:
; codeLenInByte = 208
; TotalNumSgprs: 7
; NumVgprs: 11
; ScratchSize: 0
; MemoryBound: 1
; FloatMode: 240
; IeeeMode: 1
; LDSByteSize: 1536 bytes/workgroup (compile time only)
; SGPRBlocks: 0
; VGPRBlocks: 0
; NumSGPRsForWavesPerEU: 7
; NumVGPRsForWavesPerEU: 11
; NamedBarCnt: 0
; Occupancy: 16
; WaveLimiterHint : 1
; COMPUTE_PGM_RSRC2:SCRATCH_EN: 0
; COMPUTE_PGM_RSRC2:USER_SGPR: 2
; COMPUTE_PGM_RSRC2:TRAP_HANDLER: 0
; COMPUTE_PGM_RSRC2:TGID_X_EN: 1
; COMPUTE_PGM_RSRC2:TGID_Y_EN: 0
; COMPUTE_PGM_RSRC2:TGID_Z_EN: 0
; COMPUTE_PGM_RSRC2:TIDIG_COMP_CNT: 0
	.section	.text._Z25blocked_to_striped_kernelIiiLj384ELj3EEvPT_PT0_,"axG",@progbits,_Z25blocked_to_striped_kernelIiiLj384ELj3EEvPT_PT0_,comdat
	.protected	_Z25blocked_to_striped_kernelIiiLj384ELj3EEvPT_PT0_ ; -- Begin function _Z25blocked_to_striped_kernelIiiLj384ELj3EEvPT_PT0_
	.globl	_Z25blocked_to_striped_kernelIiiLj384ELj3EEvPT_PT0_
	.p2align	8
	.type	_Z25blocked_to_striped_kernelIiiLj384ELj3EEvPT_PT0_,@function
_Z25blocked_to_striped_kernelIiiLj384ELj3EEvPT_PT0_: ; @_Z25blocked_to_striped_kernelIiiLj384ELj3EEvPT_PT0_
; %bb.0:
	s_load_b128 s[0:3], s[0:1], 0x0
	s_bfe_u32 s4, ttmp6, 0x4000c
	s_and_b32 s5, ttmp6, 15
	s_add_co_i32 s4, s4, 1
	s_getreg_b32 s6, hwreg(HW_REG_IB_STS2, 6, 4)
	s_mul_i32 s4, ttmp9, s4
	v_mul_u32_u24_e32 v1, 3, v0
	s_add_co_i32 s5, s5, s4
	s_cmp_eq_u32 s6, 0
	v_lshlrev_b32_e32 v0, 3, v0
	s_cselect_b32 s4, ttmp9, s5
	s_mov_b32 s5, 0
	s_mulk_i32 s4, 0x180
	v_lshlrev_b32_e32 v5, 2, v1
	s_lshl_b64 s[4:5], s[4:5], 2
	s_delay_alu instid0(VALU_DEP_1)
	v_sub_nc_u32_e32 v6, v5, v0
	s_wait_kmcnt 0x0
	s_add_nc_u64 s[0:1], s[0:1], s[4:5]
	global_load_b96 v[2:4], v5, s[0:1]
	s_wait_xcnt 0x0
	s_add_nc_u64 s[0:1], s[2:3], s[4:5]
	s_wait_loadcnt 0x0
	ds_store_2addr_b32 v5, v2, v3 offset1:1
	ds_store_b32 v5, v4 offset:8
	s_wait_dscnt 0x0
	s_barrier_signal -1
	s_barrier_wait -1
	ds_load_2addr_stride64_b32 v[0:1], v6 offset1:2
	ds_load_b32 v2, v6 offset:1024
	s_wait_dscnt 0x0
	global_store_b96 v5, v[0:2], s[0:1]
	s_endpgm
	.section	.rodata,"a",@progbits
	.p2align	6, 0x0
	.amdhsa_kernel _Z25blocked_to_striped_kernelIiiLj384ELj3EEvPT_PT0_
		.amdhsa_group_segment_fixed_size 1536
		.amdhsa_private_segment_fixed_size 0
		.amdhsa_kernarg_size 16
		.amdhsa_user_sgpr_count 2
		.amdhsa_user_sgpr_dispatch_ptr 0
		.amdhsa_user_sgpr_queue_ptr 0
		.amdhsa_user_sgpr_kernarg_segment_ptr 1
		.amdhsa_user_sgpr_dispatch_id 0
		.amdhsa_user_sgpr_kernarg_preload_length 0
		.amdhsa_user_sgpr_kernarg_preload_offset 0
		.amdhsa_user_sgpr_private_segment_size 0
		.amdhsa_wavefront_size32 1
		.amdhsa_uses_dynamic_stack 0
		.amdhsa_enable_private_segment 0
		.amdhsa_system_sgpr_workgroup_id_x 1
		.amdhsa_system_sgpr_workgroup_id_y 0
		.amdhsa_system_sgpr_workgroup_id_z 0
		.amdhsa_system_sgpr_workgroup_info 0
		.amdhsa_system_vgpr_workitem_id 0
		.amdhsa_next_free_vgpr 7
		.amdhsa_next_free_sgpr 7
		.amdhsa_named_barrier_count 0
		.amdhsa_reserve_vcc 0
		.amdhsa_float_round_mode_32 0
		.amdhsa_float_round_mode_16_64 0
		.amdhsa_float_denorm_mode_32 3
		.amdhsa_float_denorm_mode_16_64 3
		.amdhsa_fp16_overflow 0
		.amdhsa_memory_ordered 1
		.amdhsa_forward_progress 1
		.amdhsa_inst_pref_size 2
		.amdhsa_round_robin_scheduling 0
		.amdhsa_exception_fp_ieee_invalid_op 0
		.amdhsa_exception_fp_denorm_src 0
		.amdhsa_exception_fp_ieee_div_zero 0
		.amdhsa_exception_fp_ieee_overflow 0
		.amdhsa_exception_fp_ieee_underflow 0
		.amdhsa_exception_fp_ieee_inexact 0
		.amdhsa_exception_int_div_zero 0
	.end_amdhsa_kernel
	.section	.text._Z25blocked_to_striped_kernelIiiLj384ELj3EEvPT_PT0_,"axG",@progbits,_Z25blocked_to_striped_kernelIiiLj384ELj3EEvPT_PT0_,comdat
.Lfunc_end6:
	.size	_Z25blocked_to_striped_kernelIiiLj384ELj3EEvPT_PT0_, .Lfunc_end6-_Z25blocked_to_striped_kernelIiiLj384ELj3EEvPT_PT0_
                                        ; -- End function
	.set _Z25blocked_to_striped_kernelIiiLj384ELj3EEvPT_PT0_.num_vgpr, 7
	.set _Z25blocked_to_striped_kernelIiiLj384ELj3EEvPT_PT0_.num_agpr, 0
	.set _Z25blocked_to_striped_kernelIiiLj384ELj3EEvPT_PT0_.numbered_sgpr, 7
	.set _Z25blocked_to_striped_kernelIiiLj384ELj3EEvPT_PT0_.num_named_barrier, 0
	.set _Z25blocked_to_striped_kernelIiiLj384ELj3EEvPT_PT0_.private_seg_size, 0
	.set _Z25blocked_to_striped_kernelIiiLj384ELj3EEvPT_PT0_.uses_vcc, 0
	.set _Z25blocked_to_striped_kernelIiiLj384ELj3EEvPT_PT0_.uses_flat_scratch, 0
	.set _Z25blocked_to_striped_kernelIiiLj384ELj3EEvPT_PT0_.has_dyn_sized_stack, 0
	.set _Z25blocked_to_striped_kernelIiiLj384ELj3EEvPT_PT0_.has_recursion, 0
	.set _Z25blocked_to_striped_kernelIiiLj384ELj3EEvPT_PT0_.has_indirect_call, 0
	.section	.AMDGPU.csdata,"",@progbits
; Kernel info:
; codeLenInByte = 172
; TotalNumSgprs: 7
; NumVgprs: 7
; ScratchSize: 0
; MemoryBound: 0
; FloatMode: 240
; IeeeMode: 1
; LDSByteSize: 1536 bytes/workgroup (compile time only)
; SGPRBlocks: 0
; VGPRBlocks: 0
; NumSGPRsForWavesPerEU: 7
; NumVGPRsForWavesPerEU: 7
; NamedBarCnt: 0
; Occupancy: 16
; WaveLimiterHint : 0
; COMPUTE_PGM_RSRC2:SCRATCH_EN: 0
; COMPUTE_PGM_RSRC2:USER_SGPR: 2
; COMPUTE_PGM_RSRC2:TRAP_HANDLER: 0
; COMPUTE_PGM_RSRC2:TGID_X_EN: 1
; COMPUTE_PGM_RSRC2:TGID_Y_EN: 0
; COMPUTE_PGM_RSRC2:TGID_Z_EN: 0
; COMPUTE_PGM_RSRC2:TIDIG_COMP_CNT: 0
	.section	.text._Z25blocked_to_striped_kernelIs5dummyIfELj896ELj7EEvPT_PT0_,"axG",@progbits,_Z25blocked_to_striped_kernelIs5dummyIfELj896ELj7EEvPT_PT0_,comdat
	.protected	_Z25blocked_to_striped_kernelIs5dummyIfELj896ELj7EEvPT_PT0_ ; -- Begin function _Z25blocked_to_striped_kernelIs5dummyIfELj896ELj7EEvPT_PT0_
	.globl	_Z25blocked_to_striped_kernelIs5dummyIfELj896ELj7EEvPT_PT0_
	.p2align	8
	.type	_Z25blocked_to_striped_kernelIs5dummyIfELj896ELj7EEvPT_PT0_,@function
_Z25blocked_to_striped_kernelIs5dummyIfELj896ELj7EEvPT_PT0_: ; @_Z25blocked_to_striped_kernelIs5dummyIfELj896ELj7EEvPT_PT0_
; %bb.0:
	s_load_b128 s[0:3], s[0:1], 0x0
	s_bfe_u32 s4, ttmp6, 0x4000c
	s_and_b32 s5, ttmp6, 15
	s_add_co_i32 s4, s4, 1
	s_getreg_b32 s6, hwreg(HW_REG_IB_STS2, 6, 4)
	s_mul_i32 s4, ttmp9, s4
	v_mul_u32_u24_e32 v14, 7, v0
	s_add_co_i32 s5, s5, s4
	s_cmp_eq_u32 s6, 0
	s_cselect_b32 s4, ttmp9, s5
	s_mov_b32 s5, 0
	s_mulk_i32 s4, 0x380
	v_dual_lshlrev_b32 v1, 1, v14 :: v_dual_lshlrev_b32 v15, 3, v14
	s_lshl_b64 s[6:7], s[4:5], 1
	s_delay_alu instid0(VALU_DEP_1)
	v_mad_i32_i24 v0, v0, -12, v1
	s_wait_kmcnt 0x0
	s_add_nc_u64 s[0:1], s[0:1], s[6:7]
	s_clause 0x1
	global_load_b96 v[2:4], v1, s[0:1]
	global_load_u16 v5, v14, s[0:1] offset:12 scale_offset
	s_wait_xcnt 0x0
	s_lshl_b64 s[0:1], s[4:5], 3
	s_delay_alu instid0(SALU_CYCLE_1)
	s_add_nc_u64 s[0:1], s[2:3], s[0:1]
	s_wait_loadcnt 0x1
	v_bfi_b32 v2, 0xffff, v2, v2
	ds_store_b96 v1, v[2:4]
	s_wait_loadcnt 0x0
	ds_store_b16 v1, v5 offset:12
	s_wait_dscnt 0x0
	s_barrier_signal -1
	s_barrier_wait -1
	ds_load_i16 v1, v0
	ds_load_i16 v2, v0 offset:256
	ds_load_i16 v3, v0 offset:512
	ds_load_i16 v4, v0 offset:768
	ds_load_i16 v5, v0 offset:1024
	ds_load_i16 v6, v0 offset:1280
	ds_load_i16 v0, v0 offset:1536
	s_wait_dscnt 0x6
	v_dual_add_nc_u32 v7, 1, v1 :: v_dual_lshlrev_b32 v1, 1, v1
	s_wait_dscnt 0x4
	v_dual_add_nc_u32 v9, 1, v3 :: v_dual_lshlrev_b32 v10, 1, v3
	;; [unrolled: 2-line block ×3, first 2 shown]
	v_dual_add_nc_u32 v8, 1, v2 :: v_dual_lshlrev_b32 v2, 1, v2
	s_wait_dscnt 0x2
	v_dual_add_nc_u32 v13, 1, v5 :: v_dual_lshlrev_b32 v16, 1, v5
	s_wait_dscnt 0x1
	;; [unrolled: 2-line block ×3, first 2 shown]
	v_dual_add_nc_u32 v19, 1, v0 :: v_dual_lshlrev_b32 v20, 1, v0
	v_cvt_f32_i32_e32 v0, v7
	v_cvt_f32_i32_e32 v5, v10
	;; [unrolled: 1-line block ×14, first 2 shown]
	s_clause 0x3
	global_store_b128 v15, v[4:7], s[0:1] offset:16
	global_store_b128 v15, v[8:11], s[0:1] offset:32
	global_store_b128 v15, v[0:3], s[0:1]
	global_store_b64 v14, v[12:13], s[0:1] offset:48 scale_offset
	s_endpgm
	.section	.rodata,"a",@progbits
	.p2align	6, 0x0
	.amdhsa_kernel _Z25blocked_to_striped_kernelIs5dummyIfELj896ELj7EEvPT_PT0_
		.amdhsa_group_segment_fixed_size 1792
		.amdhsa_private_segment_fixed_size 0
		.amdhsa_kernarg_size 16
		.amdhsa_user_sgpr_count 2
		.amdhsa_user_sgpr_dispatch_ptr 0
		.amdhsa_user_sgpr_queue_ptr 0
		.amdhsa_user_sgpr_kernarg_segment_ptr 1
		.amdhsa_user_sgpr_dispatch_id 0
		.amdhsa_user_sgpr_kernarg_preload_length 0
		.amdhsa_user_sgpr_kernarg_preload_offset 0
		.amdhsa_user_sgpr_private_segment_size 0
		.amdhsa_wavefront_size32 1
		.amdhsa_uses_dynamic_stack 0
		.amdhsa_enable_private_segment 0
		.amdhsa_system_sgpr_workgroup_id_x 1
		.amdhsa_system_sgpr_workgroup_id_y 0
		.amdhsa_system_sgpr_workgroup_id_z 0
		.amdhsa_system_sgpr_workgroup_info 0
		.amdhsa_system_vgpr_workitem_id 0
		.amdhsa_next_free_vgpr 21
		.amdhsa_next_free_sgpr 8
		.amdhsa_named_barrier_count 0
		.amdhsa_reserve_vcc 0
		.amdhsa_float_round_mode_32 0
		.amdhsa_float_round_mode_16_64 0
		.amdhsa_float_denorm_mode_32 3
		.amdhsa_float_denorm_mode_16_64 3
		.amdhsa_fp16_overflow 0
		.amdhsa_memory_ordered 1
		.amdhsa_forward_progress 1
		.amdhsa_inst_pref_size 4
		.amdhsa_round_robin_scheduling 0
		.amdhsa_exception_fp_ieee_invalid_op 0
		.amdhsa_exception_fp_denorm_src 0
		.amdhsa_exception_fp_ieee_div_zero 0
		.amdhsa_exception_fp_ieee_overflow 0
		.amdhsa_exception_fp_ieee_underflow 0
		.amdhsa_exception_fp_ieee_inexact 0
		.amdhsa_exception_int_div_zero 0
	.end_amdhsa_kernel
	.section	.text._Z25blocked_to_striped_kernelIs5dummyIfELj896ELj7EEvPT_PT0_,"axG",@progbits,_Z25blocked_to_striped_kernelIs5dummyIfELj896ELj7EEvPT_PT0_,comdat
.Lfunc_end7:
	.size	_Z25blocked_to_striped_kernelIs5dummyIfELj896ELj7EEvPT_PT0_, .Lfunc_end7-_Z25blocked_to_striped_kernelIs5dummyIfELj896ELj7EEvPT_PT0_
                                        ; -- End function
	.set _Z25blocked_to_striped_kernelIs5dummyIfELj896ELj7EEvPT_PT0_.num_vgpr, 21
	.set _Z25blocked_to_striped_kernelIs5dummyIfELj896ELj7EEvPT_PT0_.num_agpr, 0
	.set _Z25blocked_to_striped_kernelIs5dummyIfELj896ELj7EEvPT_PT0_.numbered_sgpr, 8
	.set _Z25blocked_to_striped_kernelIs5dummyIfELj896ELj7EEvPT_PT0_.num_named_barrier, 0
	.set _Z25blocked_to_striped_kernelIs5dummyIfELj896ELj7EEvPT_PT0_.private_seg_size, 0
	.set _Z25blocked_to_striped_kernelIs5dummyIfELj896ELj7EEvPT_PT0_.uses_vcc, 0
	.set _Z25blocked_to_striped_kernelIs5dummyIfELj896ELj7EEvPT_PT0_.uses_flat_scratch, 0
	.set _Z25blocked_to_striped_kernelIs5dummyIfELj896ELj7EEvPT_PT0_.has_dyn_sized_stack, 0
	.set _Z25blocked_to_striped_kernelIs5dummyIfELj896ELj7EEvPT_PT0_.has_recursion, 0
	.set _Z25blocked_to_striped_kernelIs5dummyIfELj896ELj7EEvPT_PT0_.has_indirect_call, 0
	.section	.AMDGPU.csdata,"",@progbits
; Kernel info:
; codeLenInByte = 460
; TotalNumSgprs: 8
; NumVgprs: 21
; ScratchSize: 0
; MemoryBound: 0
; FloatMode: 240
; IeeeMode: 1
; LDSByteSize: 1792 bytes/workgroup (compile time only)
; SGPRBlocks: 0
; VGPRBlocks: 1
; NumSGPRsForWavesPerEU: 8
; NumVGPRsForWavesPerEU: 21
; NamedBarCnt: 0
; Occupancy: 16
; WaveLimiterHint : 0
; COMPUTE_PGM_RSRC2:SCRATCH_EN: 0
; COMPUTE_PGM_RSRC2:USER_SGPR: 2
; COMPUTE_PGM_RSRC2:TRAP_HANDLER: 0
; COMPUTE_PGM_RSRC2:TGID_X_EN: 1
; COMPUTE_PGM_RSRC2:TGID_Y_EN: 0
; COMPUTE_PGM_RSRC2:TGID_Z_EN: 0
; COMPUTE_PGM_RSRC2:TIDIG_COMP_CNT: 0
	.section	.text._Z25blocked_to_striped_kernelIiiLj2560ELj5EEvPT_PT0_,"axG",@progbits,_Z25blocked_to_striped_kernelIiiLj2560ELj5EEvPT_PT0_,comdat
	.protected	_Z25blocked_to_striped_kernelIiiLj2560ELj5EEvPT_PT0_ ; -- Begin function _Z25blocked_to_striped_kernelIiiLj2560ELj5EEvPT_PT0_
	.globl	_Z25blocked_to_striped_kernelIiiLj2560ELj5EEvPT_PT0_
	.p2align	8
	.type	_Z25blocked_to_striped_kernelIiiLj2560ELj5EEvPT_PT0_,@function
_Z25blocked_to_striped_kernelIiiLj2560ELj5EEvPT_PT0_: ; @_Z25blocked_to_striped_kernelIiiLj2560ELj5EEvPT_PT0_
; %bb.0:
	s_load_b128 s[0:3], s[0:1], 0x0
	s_bfe_u32 s4, ttmp6, 0x4000c
	s_and_b32 s5, ttmp6, 15
	s_add_co_i32 s4, s4, 1
	s_getreg_b32 s6, hwreg(HW_REG_IB_STS2, 6, 4)
	s_mul_i32 s4, ttmp9, s4
	v_mul_u32_u24_e32 v6, 5, v0
	s_add_co_i32 s5, s5, s4
	s_cmp_eq_u32 s6, 0
	v_lshlrev_b32_e32 v0, 4, v0
	s_cselect_b32 s4, ttmp9, s5
	s_mov_b32 s5, 0
	s_mulk_i32 s4, 0xa00
	v_lshlrev_b32_e32 v7, 2, v6
	s_lshl_b64 s[4:5], s[4:5], 2
	s_delay_alu instid0(VALU_DEP_1)
	v_sub_nc_u32_e32 v8, v7, v0
	s_wait_kmcnt 0x0
	s_add_nc_u64 s[0:1], s[0:1], s[4:5]
	s_clause 0x1
	global_load_b128 v[2:5], v7, s[0:1]
	global_load_b32 v1, v6, s[0:1] offset:16 scale_offset
	s_wait_xcnt 0x0
	s_add_nc_u64 s[0:1], s[2:3], s[4:5]
	s_wait_loadcnt 0x1
	ds_store_2addr_b32 v7, v2, v3 offset1:1
	ds_store_2addr_b32 v7, v4, v5 offset0:2 offset1:3
	s_wait_loadcnt 0x0
	ds_store_b32 v7, v1 offset:16
	s_wait_dscnt 0x0
	s_barrier_signal -1
	s_barrier_wait -1
	ds_load_2addr_stride64_b32 v[0:1], v8 offset1:8
	ds_load_2addr_stride64_b32 v[2:3], v8 offset0:16 offset1:24
	ds_load_b32 v4, v8 offset:8192
	s_wait_dscnt 0x1
	global_store_b128 v7, v[0:3], s[0:1]
	s_wait_dscnt 0x0
	global_store_b32 v6, v4, s[0:1] offset:16 scale_offset
	s_endpgm
	.section	.rodata,"a",@progbits
	.p2align	6, 0x0
	.amdhsa_kernel _Z25blocked_to_striped_kernelIiiLj2560ELj5EEvPT_PT0_
		.amdhsa_group_segment_fixed_size 10240
		.amdhsa_private_segment_fixed_size 0
		.amdhsa_kernarg_size 16
		.amdhsa_user_sgpr_count 2
		.amdhsa_user_sgpr_dispatch_ptr 0
		.amdhsa_user_sgpr_queue_ptr 0
		.amdhsa_user_sgpr_kernarg_segment_ptr 1
		.amdhsa_user_sgpr_dispatch_id 0
		.amdhsa_user_sgpr_kernarg_preload_length 0
		.amdhsa_user_sgpr_kernarg_preload_offset 0
		.amdhsa_user_sgpr_private_segment_size 0
		.amdhsa_wavefront_size32 1
		.amdhsa_uses_dynamic_stack 0
		.amdhsa_enable_private_segment 0
		.amdhsa_system_sgpr_workgroup_id_x 1
		.amdhsa_system_sgpr_workgroup_id_y 0
		.amdhsa_system_sgpr_workgroup_id_z 0
		.amdhsa_system_sgpr_workgroup_info 0
		.amdhsa_system_vgpr_workitem_id 0
		.amdhsa_next_free_vgpr 9
		.amdhsa_next_free_sgpr 7
		.amdhsa_named_barrier_count 0
		.amdhsa_reserve_vcc 0
		.amdhsa_float_round_mode_32 0
		.amdhsa_float_round_mode_16_64 0
		.amdhsa_float_denorm_mode_32 3
		.amdhsa_float_denorm_mode_16_64 3
		.amdhsa_fp16_overflow 0
		.amdhsa_memory_ordered 1
		.amdhsa_forward_progress 1
		.amdhsa_inst_pref_size 2
		.amdhsa_round_robin_scheduling 0
		.amdhsa_exception_fp_ieee_invalid_op 0
		.amdhsa_exception_fp_denorm_src 0
		.amdhsa_exception_fp_ieee_div_zero 0
		.amdhsa_exception_fp_ieee_overflow 0
		.amdhsa_exception_fp_ieee_underflow 0
		.amdhsa_exception_fp_ieee_inexact 0
		.amdhsa_exception_int_div_zero 0
	.end_amdhsa_kernel
	.section	.text._Z25blocked_to_striped_kernelIiiLj2560ELj5EEvPT_PT0_,"axG",@progbits,_Z25blocked_to_striped_kernelIiiLj2560ELj5EEvPT_PT0_,comdat
.Lfunc_end8:
	.size	_Z25blocked_to_striped_kernelIiiLj2560ELj5EEvPT_PT0_, .Lfunc_end8-_Z25blocked_to_striped_kernelIiiLj2560ELj5EEvPT_PT0_
                                        ; -- End function
	.set _Z25blocked_to_striped_kernelIiiLj2560ELj5EEvPT_PT0_.num_vgpr, 9
	.set _Z25blocked_to_striped_kernelIiiLj2560ELj5EEvPT_PT0_.num_agpr, 0
	.set _Z25blocked_to_striped_kernelIiiLj2560ELj5EEvPT_PT0_.numbered_sgpr, 7
	.set _Z25blocked_to_striped_kernelIiiLj2560ELj5EEvPT_PT0_.num_named_barrier, 0
	.set _Z25blocked_to_striped_kernelIiiLj2560ELj5EEvPT_PT0_.private_seg_size, 0
	.set _Z25blocked_to_striped_kernelIiiLj2560ELj5EEvPT_PT0_.uses_vcc, 0
	.set _Z25blocked_to_striped_kernelIiiLj2560ELj5EEvPT_PT0_.uses_flat_scratch, 0
	.set _Z25blocked_to_striped_kernelIiiLj2560ELj5EEvPT_PT0_.has_dyn_sized_stack, 0
	.set _Z25blocked_to_striped_kernelIiiLj2560ELj5EEvPT_PT0_.has_recursion, 0
	.set _Z25blocked_to_striped_kernelIiiLj2560ELj5EEvPT_PT0_.has_indirect_call, 0
	.section	.AMDGPU.csdata,"",@progbits
; Kernel info:
; codeLenInByte = 224
; TotalNumSgprs: 7
; NumVgprs: 9
; ScratchSize: 0
; MemoryBound: 0
; FloatMode: 240
; IeeeMode: 1
; LDSByteSize: 10240 bytes/workgroup (compile time only)
; SGPRBlocks: 0
; VGPRBlocks: 0
; NumSGPRsForWavesPerEU: 7
; NumVGPRsForWavesPerEU: 9
; NamedBarCnt: 0
; Occupancy: 16
; WaveLimiterHint : 0
; COMPUTE_PGM_RSRC2:SCRATCH_EN: 0
; COMPUTE_PGM_RSRC2:USER_SGPR: 2
; COMPUTE_PGM_RSRC2:TRAP_HANDLER: 0
; COMPUTE_PGM_RSRC2:TGID_X_EN: 1
; COMPUTE_PGM_RSRC2:TGID_Y_EN: 0
; COMPUTE_PGM_RSRC2:TGID_Z_EN: 0
; COMPUTE_PGM_RSRC2:TIDIG_COMP_CNT: 0
	.section	.text._Z25blocked_to_striped_kernelIxxLj1024ELj4EEvPT_PT0_,"axG",@progbits,_Z25blocked_to_striped_kernelIxxLj1024ELj4EEvPT_PT0_,comdat
	.protected	_Z25blocked_to_striped_kernelIxxLj1024ELj4EEvPT_PT0_ ; -- Begin function _Z25blocked_to_striped_kernelIxxLj1024ELj4EEvPT_PT0_
	.globl	_Z25blocked_to_striped_kernelIxxLj1024ELj4EEvPT_PT0_
	.p2align	8
	.type	_Z25blocked_to_striped_kernelIxxLj1024ELj4EEvPT_PT0_,@function
_Z25blocked_to_striped_kernelIxxLj1024ELj4EEvPT_PT0_: ; @_Z25blocked_to_striped_kernelIxxLj1024ELj4EEvPT_PT0_
; %bb.0:
	s_load_b128 s[0:3], s[0:1], 0x0
	s_bfe_u32 s4, ttmp6, 0x4000c
	s_and_b32 s5, ttmp6, 15
	s_add_co_i32 s4, s4, 1
	s_getreg_b32 s6, hwreg(HW_REG_IB_STS2, 6, 4)
	s_mul_i32 s4, ttmp9, s4
	v_dual_lshlrev_b32 v10, 5, v0 :: v_dual_lshrrev_b32 v14, 2, v0
	s_add_co_i32 s5, s5, s4
	s_cmp_eq_u32 s6, 0
	v_add_nc_u32_e32 v1, 0x100, v0
	s_cselect_b32 s4, ttmp9, s5
	s_mov_b32 s5, 0
	s_lshl_b32 s4, s4, 10
	v_or_b32_e32 v11, 0x200, v0
	s_lshl_b64 s[4:5], s[4:5], 3
	v_add_nc_u32_e32 v12, 0x300, v0
	v_lshrrev_b32_e32 v1, 2, v1
	v_and_b32_e32 v13, 0x1f8, v0
	v_lshrrev_b32_e32 v11, 2, v11
	s_wait_kmcnt 0x0
	s_add_nc_u64 s[0:1], s[0:1], s[4:5]
	v_lshrrev_b32_e32 v12, 2, v12
	s_clause 0x1
	global_load_b128 v[2:5], v10, s[0:1]
	global_load_b128 v[6:9], v10, s[0:1] offset:16
	v_lshlrev_b32_e32 v0, 3, v0
	v_and_b32_e32 v14, 0x78, v14
	v_and_b32_e32 v1, 0xf8, v1
	;; [unrolled: 1-line block ×3, first 2 shown]
	v_add_nc_u32_e32 v13, v13, v10
	v_and_b32_e32 v12, 0x1f8, v12
	s_delay_alu instid0(VALU_DEP_4) | instskip(NEXT) | instid1(VALU_DEP_4)
	v_dual_add_nc_u32 v14, v14, v0 :: v_dual_add_nc_u32 v15, v1, v0
	v_add_nc_u32_e32 v11, v11, v0
	s_wait_xcnt 0x0
	s_add_nc_u64 s[0:1], s[2:3], s[4:5]
	v_add_nc_u32_e32 v12, v12, v0
	s_wait_loadcnt 0x1
	ds_store_2addr_b64 v13, v[2:3], v[4:5] offset1:1
	s_wait_loadcnt 0x0
	ds_store_2addr_b64 v13, v[6:7], v[8:9] offset0:2 offset1:3
	s_wait_dscnt 0x0
	s_barrier_signal -1
	s_barrier_wait -1
	ds_load_b64 v[0:1], v14
	ds_load_b64 v[2:3], v15 offset:2048
	ds_load_b64 v[4:5], v11 offset:4096
	;; [unrolled: 1-line block ×3, first 2 shown]
	s_wait_dscnt 0x2
	global_store_b128 v10, v[0:3], s[0:1]
	s_wait_dscnt 0x0
	global_store_b128 v10, v[4:7], s[0:1] offset:16
	s_endpgm
	.section	.rodata,"a",@progbits
	.p2align	6, 0x0
	.amdhsa_kernel _Z25blocked_to_striped_kernelIxxLj1024ELj4EEvPT_PT0_
		.amdhsa_group_segment_fixed_size 8448
		.amdhsa_private_segment_fixed_size 0
		.amdhsa_kernarg_size 16
		.amdhsa_user_sgpr_count 2
		.amdhsa_user_sgpr_dispatch_ptr 0
		.amdhsa_user_sgpr_queue_ptr 0
		.amdhsa_user_sgpr_kernarg_segment_ptr 1
		.amdhsa_user_sgpr_dispatch_id 0
		.amdhsa_user_sgpr_kernarg_preload_length 0
		.amdhsa_user_sgpr_kernarg_preload_offset 0
		.amdhsa_user_sgpr_private_segment_size 0
		.amdhsa_wavefront_size32 1
		.amdhsa_uses_dynamic_stack 0
		.amdhsa_enable_private_segment 0
		.amdhsa_system_sgpr_workgroup_id_x 1
		.amdhsa_system_sgpr_workgroup_id_y 0
		.amdhsa_system_sgpr_workgroup_id_z 0
		.amdhsa_system_sgpr_workgroup_info 0
		.amdhsa_system_vgpr_workitem_id 0
		.amdhsa_next_free_vgpr 16
		.amdhsa_next_free_sgpr 7
		.amdhsa_named_barrier_count 0
		.amdhsa_reserve_vcc 0
		.amdhsa_float_round_mode_32 0
		.amdhsa_float_round_mode_16_64 0
		.amdhsa_float_denorm_mode_32 3
		.amdhsa_float_denorm_mode_16_64 3
		.amdhsa_fp16_overflow 0
		.amdhsa_memory_ordered 1
		.amdhsa_forward_progress 1
		.amdhsa_inst_pref_size 3
		.amdhsa_round_robin_scheduling 0
		.amdhsa_exception_fp_ieee_invalid_op 0
		.amdhsa_exception_fp_denorm_src 0
		.amdhsa_exception_fp_ieee_div_zero 0
		.amdhsa_exception_fp_ieee_overflow 0
		.amdhsa_exception_fp_ieee_underflow 0
		.amdhsa_exception_fp_ieee_inexact 0
		.amdhsa_exception_int_div_zero 0
	.end_amdhsa_kernel
	.section	.text._Z25blocked_to_striped_kernelIxxLj1024ELj4EEvPT_PT0_,"axG",@progbits,_Z25blocked_to_striped_kernelIxxLj1024ELj4EEvPT_PT0_,comdat
.Lfunc_end9:
	.size	_Z25blocked_to_striped_kernelIxxLj1024ELj4EEvPT_PT0_, .Lfunc_end9-_Z25blocked_to_striped_kernelIxxLj1024ELj4EEvPT_PT0_
                                        ; -- End function
	.set _Z25blocked_to_striped_kernelIxxLj1024ELj4EEvPT_PT0_.num_vgpr, 16
	.set _Z25blocked_to_striped_kernelIxxLj1024ELj4EEvPT_PT0_.num_agpr, 0
	.set _Z25blocked_to_striped_kernelIxxLj1024ELj4EEvPT_PT0_.numbered_sgpr, 7
	.set _Z25blocked_to_striped_kernelIxxLj1024ELj4EEvPT_PT0_.num_named_barrier, 0
	.set _Z25blocked_to_striped_kernelIxxLj1024ELj4EEvPT_PT0_.private_seg_size, 0
	.set _Z25blocked_to_striped_kernelIxxLj1024ELj4EEvPT_PT0_.uses_vcc, 0
	.set _Z25blocked_to_striped_kernelIxxLj1024ELj4EEvPT_PT0_.uses_flat_scratch, 0
	.set _Z25blocked_to_striped_kernelIxxLj1024ELj4EEvPT_PT0_.has_dyn_sized_stack, 0
	.set _Z25blocked_to_striped_kernelIxxLj1024ELj4EEvPT_PT0_.has_recursion, 0
	.set _Z25blocked_to_striped_kernelIxxLj1024ELj4EEvPT_PT0_.has_indirect_call, 0
	.section	.AMDGPU.csdata,"",@progbits
; Kernel info:
; codeLenInByte = 324
; TotalNumSgprs: 7
; NumVgprs: 16
; ScratchSize: 0
; MemoryBound: 0
; FloatMode: 240
; IeeeMode: 1
; LDSByteSize: 8448 bytes/workgroup (compile time only)
; SGPRBlocks: 0
; VGPRBlocks: 0
; NumSGPRsForWavesPerEU: 7
; NumVGPRsForWavesPerEU: 16
; NamedBarCnt: 0
; Occupancy: 16
; WaveLimiterHint : 0
; COMPUTE_PGM_RSRC2:SCRATCH_EN: 0
; COMPUTE_PGM_RSRC2:USER_SGPR: 2
; COMPUTE_PGM_RSRC2:TRAP_HANDLER: 0
; COMPUTE_PGM_RSRC2:TGID_X_EN: 1
; COMPUTE_PGM_RSRC2:TGID_Y_EN: 0
; COMPUTE_PGM_RSRC2:TGID_Z_EN: 0
; COMPUTE_PGM_RSRC2:TIDIG_COMP_CNT: 0
	.section	.text._Z25blocked_to_striped_kernelIiiLj128ELj2EEvPT_PT0_,"axG",@progbits,_Z25blocked_to_striped_kernelIiiLj128ELj2EEvPT_PT0_,comdat
	.protected	_Z25blocked_to_striped_kernelIiiLj128ELj2EEvPT_PT0_ ; -- Begin function _Z25blocked_to_striped_kernelIiiLj128ELj2EEvPT_PT0_
	.globl	_Z25blocked_to_striped_kernelIiiLj128ELj2EEvPT_PT0_
	.p2align	8
	.type	_Z25blocked_to_striped_kernelIiiLj128ELj2EEvPT_PT0_,@function
_Z25blocked_to_striped_kernelIiiLj128ELj2EEvPT_PT0_: ; @_Z25blocked_to_striped_kernelIiiLj128ELj2EEvPT_PT0_
; %bb.0:
	s_load_b128 s[0:3], s[0:1], 0x0
	s_bfe_u32 s4, ttmp6, 0x4000c
	s_and_b32 s5, ttmp6, 15
	s_add_co_i32 s4, s4, 1
	s_getreg_b32 s6, hwreg(HW_REG_IB_STS2, 6, 4)
	s_mul_i32 s4, ttmp9, s4
	v_dual_add_nc_u32 v1, 64, v0 :: v_dual_lshrrev_b32 v4, 2, v0
	s_add_co_i32 s5, s5, s4
	s_cmp_eq_u32 s6, 0
	s_delay_alu instid0(VALU_DEP_1)
	v_dual_lshrrev_b32 v5, 3, v0 :: v_dual_lshrrev_b32 v1, 3, v1
	s_cselect_b32 s4, ttmp9, s5
	s_mov_b32 s5, 0
	s_lshl_b32 s4, s4, 7
	v_and_b32_e32 v4, 0x7c, v4
	s_lshl_b64 s[4:5], s[4:5], 2
	v_dual_lshlrev_b32 v6, 2, v0 :: v_dual_bitop2_b32 v5, 60, v5 bitop3:0x40
	v_and_b32_e32 v1, 0x7c, v1
	s_wait_kmcnt 0x0
	s_add_nc_u64 s[0:1], s[0:1], s[4:5]
	v_lshl_add_u32 v4, v0, 3, v4
	global_load_b64 v[2:3], v0, s[0:1] scale_offset
	v_add_nc_u32_e32 v5, v5, v6
	v_add_nc_u32_e32 v1, v1, v6
	s_wait_xcnt 0x0
	s_add_nc_u64 s[0:1], s[2:3], s[4:5]
	s_wait_loadcnt 0x0
	ds_store_2addr_b32 v4, v2, v3 offset1:1
	s_wait_dscnt 0x0
	s_barrier_signal -1
	s_barrier_wait -1
	ds_load_b32 v2, v5
	ds_load_b32 v3, v1 offset:256
	s_wait_dscnt 0x0
	global_store_b64 v0, v[2:3], s[0:1] scale_offset
	s_endpgm
	.section	.rodata,"a",@progbits
	.p2align	6, 0x0
	.amdhsa_kernel _Z25blocked_to_striped_kernelIiiLj128ELj2EEvPT_PT0_
		.amdhsa_group_segment_fixed_size 528
		.amdhsa_private_segment_fixed_size 0
		.amdhsa_kernarg_size 16
		.amdhsa_user_sgpr_count 2
		.amdhsa_user_sgpr_dispatch_ptr 0
		.amdhsa_user_sgpr_queue_ptr 0
		.amdhsa_user_sgpr_kernarg_segment_ptr 1
		.amdhsa_user_sgpr_dispatch_id 0
		.amdhsa_user_sgpr_kernarg_preload_length 0
		.amdhsa_user_sgpr_kernarg_preload_offset 0
		.amdhsa_user_sgpr_private_segment_size 0
		.amdhsa_wavefront_size32 1
		.amdhsa_uses_dynamic_stack 0
		.amdhsa_enable_private_segment 0
		.amdhsa_system_sgpr_workgroup_id_x 1
		.amdhsa_system_sgpr_workgroup_id_y 0
		.amdhsa_system_sgpr_workgroup_id_z 0
		.amdhsa_system_sgpr_workgroup_info 0
		.amdhsa_system_vgpr_workitem_id 0
		.amdhsa_next_free_vgpr 7
		.amdhsa_next_free_sgpr 7
		.amdhsa_named_barrier_count 0
		.amdhsa_reserve_vcc 0
		.amdhsa_float_round_mode_32 0
		.amdhsa_float_round_mode_16_64 0
		.amdhsa_float_denorm_mode_32 3
		.amdhsa_float_denorm_mode_16_64 3
		.amdhsa_fp16_overflow 0
		.amdhsa_memory_ordered 1
		.amdhsa_forward_progress 1
		.amdhsa_inst_pref_size 2
		.amdhsa_round_robin_scheduling 0
		.amdhsa_exception_fp_ieee_invalid_op 0
		.amdhsa_exception_fp_denorm_src 0
		.amdhsa_exception_fp_ieee_div_zero 0
		.amdhsa_exception_fp_ieee_overflow 0
		.amdhsa_exception_fp_ieee_underflow 0
		.amdhsa_exception_fp_ieee_inexact 0
		.amdhsa_exception_int_div_zero 0
	.end_amdhsa_kernel
	.section	.text._Z25blocked_to_striped_kernelIiiLj128ELj2EEvPT_PT0_,"axG",@progbits,_Z25blocked_to_striped_kernelIiiLj128ELj2EEvPT_PT0_,comdat
.Lfunc_end10:
	.size	_Z25blocked_to_striped_kernelIiiLj128ELj2EEvPT_PT0_, .Lfunc_end10-_Z25blocked_to_striped_kernelIiiLj128ELj2EEvPT_PT0_
                                        ; -- End function
	.set _Z25blocked_to_striped_kernelIiiLj128ELj2EEvPT_PT0_.num_vgpr, 7
	.set _Z25blocked_to_striped_kernelIiiLj128ELj2EEvPT_PT0_.num_agpr, 0
	.set _Z25blocked_to_striped_kernelIiiLj128ELj2EEvPT_PT0_.numbered_sgpr, 7
	.set _Z25blocked_to_striped_kernelIiiLj128ELj2EEvPT_PT0_.num_named_barrier, 0
	.set _Z25blocked_to_striped_kernelIiiLj128ELj2EEvPT_PT0_.private_seg_size, 0
	.set _Z25blocked_to_striped_kernelIiiLj128ELj2EEvPT_PT0_.uses_vcc, 0
	.set _Z25blocked_to_striped_kernelIiiLj128ELj2EEvPT_PT0_.uses_flat_scratch, 0
	.set _Z25blocked_to_striped_kernelIiiLj128ELj2EEvPT_PT0_.has_dyn_sized_stack, 0
	.set _Z25blocked_to_striped_kernelIiiLj128ELj2EEvPT_PT0_.has_recursion, 0
	.set _Z25blocked_to_striped_kernelIiiLj128ELj2EEvPT_PT0_.has_indirect_call, 0
	.section	.AMDGPU.csdata,"",@progbits
; Kernel info:
; codeLenInByte = 216
; TotalNumSgprs: 7
; NumVgprs: 7
; ScratchSize: 0
; MemoryBound: 0
; FloatMode: 240
; IeeeMode: 1
; LDSByteSize: 528 bytes/workgroup (compile time only)
; SGPRBlocks: 0
; VGPRBlocks: 0
; NumSGPRsForWavesPerEU: 7
; NumVGPRsForWavesPerEU: 7
; NamedBarCnt: 0
; Occupancy: 16
; WaveLimiterHint : 0
; COMPUTE_PGM_RSRC2:SCRATCH_EN: 0
; COMPUTE_PGM_RSRC2:USER_SGPR: 2
; COMPUTE_PGM_RSRC2:TRAP_HANDLER: 0
; COMPUTE_PGM_RSRC2:TGID_X_EN: 1
; COMPUTE_PGM_RSRC2:TGID_Y_EN: 0
; COMPUTE_PGM_RSRC2:TGID_Z_EN: 0
; COMPUTE_PGM_RSRC2:TIDIG_COMP_CNT: 0
	.section	.text._Z25blocked_to_striped_kernelIxxLj512ELj1EEvPT_PT0_,"axG",@progbits,_Z25blocked_to_striped_kernelIxxLj512ELj1EEvPT_PT0_,comdat
	.protected	_Z25blocked_to_striped_kernelIxxLj512ELj1EEvPT_PT0_ ; -- Begin function _Z25blocked_to_striped_kernelIxxLj512ELj1EEvPT_PT0_
	.globl	_Z25blocked_to_striped_kernelIxxLj512ELj1EEvPT_PT0_
	.p2align	8
	.type	_Z25blocked_to_striped_kernelIxxLj512ELj1EEvPT_PT0_,@function
_Z25blocked_to_striped_kernelIxxLj512ELj1EEvPT_PT0_: ; @_Z25blocked_to_striped_kernelIxxLj512ELj1EEvPT_PT0_
; %bb.0:
	s_load_b128 s[0:3], s[0:1], 0x0
	s_bfe_u32 s4, ttmp6, 0x4000c
	s_and_b32 s5, ttmp6, 15
	s_add_co_i32 s4, s4, 1
	s_getreg_b32 s6, hwreg(HW_REG_IB_STS2, 6, 4)
	s_mul_i32 s4, ttmp9, s4
	v_lshlrev_b32_e32 v1, 3, v0
	s_add_co_i32 s5, s5, s4
	s_cmp_eq_u32 s6, 0
	s_cselect_b32 s4, ttmp9, s5
	s_mov_b32 s5, 0
	s_lshl_b32 s4, s4, 9
	s_delay_alu instid0(SALU_CYCLE_1)
	s_lshl_b64 s[4:5], s[4:5], 3
	s_wait_kmcnt 0x0
	s_add_nc_u64 s[0:1], s[0:1], s[4:5]
	global_load_b64 v[2:3], v0, s[0:1] scale_offset
	s_wait_xcnt 0x0
	s_add_nc_u64 s[0:1], s[2:3], s[4:5]
	s_wait_loadcnt 0x0
	ds_store_b64 v1, v[2:3]
	s_wait_dscnt 0x0
	s_barrier_signal -1
	s_barrier_wait -1
	ds_load_b64 v[2:3], v1
	s_wait_dscnt 0x0
	global_store_b64 v0, v[2:3], s[0:1] scale_offset
	s_endpgm
	.section	.rodata,"a",@progbits
	.p2align	6, 0x0
	.amdhsa_kernel _Z25blocked_to_striped_kernelIxxLj512ELj1EEvPT_PT0_
		.amdhsa_group_segment_fixed_size 4096
		.amdhsa_private_segment_fixed_size 0
		.amdhsa_kernarg_size 16
		.amdhsa_user_sgpr_count 2
		.amdhsa_user_sgpr_dispatch_ptr 0
		.amdhsa_user_sgpr_queue_ptr 0
		.amdhsa_user_sgpr_kernarg_segment_ptr 1
		.amdhsa_user_sgpr_dispatch_id 0
		.amdhsa_user_sgpr_kernarg_preload_length 0
		.amdhsa_user_sgpr_kernarg_preload_offset 0
		.amdhsa_user_sgpr_private_segment_size 0
		.amdhsa_wavefront_size32 1
		.amdhsa_uses_dynamic_stack 0
		.amdhsa_enable_private_segment 0
		.amdhsa_system_sgpr_workgroup_id_x 1
		.amdhsa_system_sgpr_workgroup_id_y 0
		.amdhsa_system_sgpr_workgroup_id_z 0
		.amdhsa_system_sgpr_workgroup_info 0
		.amdhsa_system_vgpr_workitem_id 0
		.amdhsa_next_free_vgpr 4
		.amdhsa_next_free_sgpr 7
		.amdhsa_named_barrier_count 0
		.amdhsa_reserve_vcc 0
		.amdhsa_float_round_mode_32 0
		.amdhsa_float_round_mode_16_64 0
		.amdhsa_float_denorm_mode_32 3
		.amdhsa_float_denorm_mode_16_64 3
		.amdhsa_fp16_overflow 0
		.amdhsa_memory_ordered 1
		.amdhsa_forward_progress 1
		.amdhsa_inst_pref_size 2
		.amdhsa_round_robin_scheduling 0
		.amdhsa_exception_fp_ieee_invalid_op 0
		.amdhsa_exception_fp_denorm_src 0
		.amdhsa_exception_fp_ieee_div_zero 0
		.amdhsa_exception_fp_ieee_overflow 0
		.amdhsa_exception_fp_ieee_underflow 0
		.amdhsa_exception_fp_ieee_inexact 0
		.amdhsa_exception_int_div_zero 0
	.end_amdhsa_kernel
	.section	.text._Z25blocked_to_striped_kernelIxxLj512ELj1EEvPT_PT0_,"axG",@progbits,_Z25blocked_to_striped_kernelIxxLj512ELj1EEvPT_PT0_,comdat
.Lfunc_end11:
	.size	_Z25blocked_to_striped_kernelIxxLj512ELj1EEvPT_PT0_, .Lfunc_end11-_Z25blocked_to_striped_kernelIxxLj512ELj1EEvPT_PT0_
                                        ; -- End function
	.set _Z25blocked_to_striped_kernelIxxLj512ELj1EEvPT_PT0_.num_vgpr, 4
	.set _Z25blocked_to_striped_kernelIxxLj512ELj1EEvPT_PT0_.num_agpr, 0
	.set _Z25blocked_to_striped_kernelIxxLj512ELj1EEvPT_PT0_.numbered_sgpr, 7
	.set _Z25blocked_to_striped_kernelIxxLj512ELj1EEvPT_PT0_.num_named_barrier, 0
	.set _Z25blocked_to_striped_kernelIxxLj512ELj1EEvPT_PT0_.private_seg_size, 0
	.set _Z25blocked_to_striped_kernelIxxLj512ELj1EEvPT_PT0_.uses_vcc, 0
	.set _Z25blocked_to_striped_kernelIxxLj512ELj1EEvPT_PT0_.uses_flat_scratch, 0
	.set _Z25blocked_to_striped_kernelIxxLj512ELj1EEvPT_PT0_.has_dyn_sized_stack, 0
	.set _Z25blocked_to_striped_kernelIxxLj512ELj1EEvPT_PT0_.has_recursion, 0
	.set _Z25blocked_to_striped_kernelIxxLj512ELj1EEvPT_PT0_.has_indirect_call, 0
	.section	.AMDGPU.csdata,"",@progbits
; Kernel info:
; codeLenInByte = 144
; TotalNumSgprs: 7
; NumVgprs: 4
; ScratchSize: 0
; MemoryBound: 0
; FloatMode: 240
; IeeeMode: 1
; LDSByteSize: 4096 bytes/workgroup (compile time only)
; SGPRBlocks: 0
; VGPRBlocks: 0
; NumSGPRsForWavesPerEU: 7
; NumVGPRsForWavesPerEU: 4
; NamedBarCnt: 0
; Occupancy: 16
; WaveLimiterHint : 0
; COMPUTE_PGM_RSRC2:SCRATCH_EN: 0
; COMPUTE_PGM_RSRC2:USER_SGPR: 2
; COMPUTE_PGM_RSRC2:TRAP_HANDLER: 0
; COMPUTE_PGM_RSRC2:TGID_X_EN: 1
; COMPUTE_PGM_RSRC2:TGID_Y_EN: 0
; COMPUTE_PGM_RSRC2:TGID_Z_EN: 0
; COMPUTE_PGM_RSRC2:TIDIG_COMP_CNT: 0
	.section	.text._Z25blocked_to_striped_kernelIs5dummyIiELj256ELj1EEvPT_PT0_,"axG",@progbits,_Z25blocked_to_striped_kernelIs5dummyIiELj256ELj1EEvPT_PT0_,comdat
	.protected	_Z25blocked_to_striped_kernelIs5dummyIiELj256ELj1EEvPT_PT0_ ; -- Begin function _Z25blocked_to_striped_kernelIs5dummyIiELj256ELj1EEvPT_PT0_
	.globl	_Z25blocked_to_striped_kernelIs5dummyIiELj256ELj1EEvPT_PT0_
	.p2align	8
	.type	_Z25blocked_to_striped_kernelIs5dummyIiELj256ELj1EEvPT_PT0_,@function
_Z25blocked_to_striped_kernelIs5dummyIiELj256ELj1EEvPT_PT0_: ; @_Z25blocked_to_striped_kernelIs5dummyIiELj256ELj1EEvPT_PT0_
; %bb.0:
	s_load_b128 s[0:3], s[0:1], 0x0
	s_bfe_u32 s4, ttmp6, 0x4000c
	s_and_b32 s5, ttmp6, 15
	s_add_co_i32 s4, s4, 1
	s_getreg_b32 s6, hwreg(HW_REG_IB_STS2, 6, 4)
	s_mul_i32 s4, ttmp9, s4
	v_lshlrev_b32_e32 v2, 1, v0
	s_add_co_i32 s5, s5, s4
	s_cmp_eq_u32 s6, 0
	s_cselect_b32 s4, ttmp9, s5
	s_mov_b32 s5, 0
	s_lshl_b32 s4, s4, 8
	s_delay_alu instid0(SALU_CYCLE_1)
	s_lshl_b64 s[6:7], s[4:5], 1
	s_wait_kmcnt 0x0
	s_add_nc_u64 s[0:1], s[0:1], s[6:7]
	global_load_u16 v1, v0, s[0:1] scale_offset
	s_wait_xcnt 0x0
	s_lshl_b64 s[0:1], s[4:5], 3
	s_delay_alu instid0(SALU_CYCLE_1)
	s_add_nc_u64 s[0:1], s[2:3], s[0:1]
	s_wait_loadcnt 0x0
	ds_store_b16 v2, v1
	s_wait_dscnt 0x0
	s_barrier_signal -1
	s_barrier_wait -1
	ds_load_i16 v1, v2
	s_wait_dscnt 0x0
	v_dual_lshlrev_b32 v3, 1, v1 :: v_dual_add_nc_u32 v2, 1, v1
	global_store_b64 v0, v[2:3], s[0:1] scale_offset
	s_endpgm
	.section	.rodata,"a",@progbits
	.p2align	6, 0x0
	.amdhsa_kernel _Z25blocked_to_striped_kernelIs5dummyIiELj256ELj1EEvPT_PT0_
		.amdhsa_group_segment_fixed_size 512
		.amdhsa_private_segment_fixed_size 0
		.amdhsa_kernarg_size 16
		.amdhsa_user_sgpr_count 2
		.amdhsa_user_sgpr_dispatch_ptr 0
		.amdhsa_user_sgpr_queue_ptr 0
		.amdhsa_user_sgpr_kernarg_segment_ptr 1
		.amdhsa_user_sgpr_dispatch_id 0
		.amdhsa_user_sgpr_kernarg_preload_length 0
		.amdhsa_user_sgpr_kernarg_preload_offset 0
		.amdhsa_user_sgpr_private_segment_size 0
		.amdhsa_wavefront_size32 1
		.amdhsa_uses_dynamic_stack 0
		.amdhsa_enable_private_segment 0
		.amdhsa_system_sgpr_workgroup_id_x 1
		.amdhsa_system_sgpr_workgroup_id_y 0
		.amdhsa_system_sgpr_workgroup_id_z 0
		.amdhsa_system_sgpr_workgroup_info 0
		.amdhsa_system_vgpr_workitem_id 0
		.amdhsa_next_free_vgpr 4
		.amdhsa_next_free_sgpr 8
		.amdhsa_named_barrier_count 0
		.amdhsa_reserve_vcc 0
		.amdhsa_float_round_mode_32 0
		.amdhsa_float_round_mode_16_64 0
		.amdhsa_float_denorm_mode_32 3
		.amdhsa_float_denorm_mode_16_64 3
		.amdhsa_fp16_overflow 0
		.amdhsa_memory_ordered 1
		.amdhsa_forward_progress 1
		.amdhsa_inst_pref_size 2
		.amdhsa_round_robin_scheduling 0
		.amdhsa_exception_fp_ieee_invalid_op 0
		.amdhsa_exception_fp_denorm_src 0
		.amdhsa_exception_fp_ieee_div_zero 0
		.amdhsa_exception_fp_ieee_overflow 0
		.amdhsa_exception_fp_ieee_underflow 0
		.amdhsa_exception_fp_ieee_inexact 0
		.amdhsa_exception_int_div_zero 0
	.end_amdhsa_kernel
	.section	.text._Z25blocked_to_striped_kernelIs5dummyIiELj256ELj1EEvPT_PT0_,"axG",@progbits,_Z25blocked_to_striped_kernelIs5dummyIiELj256ELj1EEvPT_PT0_,comdat
.Lfunc_end12:
	.size	_Z25blocked_to_striped_kernelIs5dummyIiELj256ELj1EEvPT_PT0_, .Lfunc_end12-_Z25blocked_to_striped_kernelIs5dummyIiELj256ELj1EEvPT_PT0_
                                        ; -- End function
	.set _Z25blocked_to_striped_kernelIs5dummyIiELj256ELj1EEvPT_PT0_.num_vgpr, 4
	.set _Z25blocked_to_striped_kernelIs5dummyIiELj256ELj1EEvPT_PT0_.num_agpr, 0
	.set _Z25blocked_to_striped_kernelIs5dummyIiELj256ELj1EEvPT_PT0_.numbered_sgpr, 8
	.set _Z25blocked_to_striped_kernelIs5dummyIiELj256ELj1EEvPT_PT0_.num_named_barrier, 0
	.set _Z25blocked_to_striped_kernelIs5dummyIiELj256ELj1EEvPT_PT0_.private_seg_size, 0
	.set _Z25blocked_to_striped_kernelIs5dummyIiELj256ELj1EEvPT_PT0_.uses_vcc, 0
	.set _Z25blocked_to_striped_kernelIs5dummyIiELj256ELj1EEvPT_PT0_.uses_flat_scratch, 0
	.set _Z25blocked_to_striped_kernelIs5dummyIiELj256ELj1EEvPT_PT0_.has_dyn_sized_stack, 0
	.set _Z25blocked_to_striped_kernelIs5dummyIiELj256ELj1EEvPT_PT0_.has_recursion, 0
	.set _Z25blocked_to_striped_kernelIs5dummyIiELj256ELj1EEvPT_PT0_.has_indirect_call, 0
	.section	.AMDGPU.csdata,"",@progbits
; Kernel info:
; codeLenInByte = 164
; TotalNumSgprs: 8
; NumVgprs: 4
; ScratchSize: 0
; MemoryBound: 0
; FloatMode: 240
; IeeeMode: 1
; LDSByteSize: 512 bytes/workgroup (compile time only)
; SGPRBlocks: 0
; VGPRBlocks: 0
; NumSGPRsForWavesPerEU: 8
; NumVGPRsForWavesPerEU: 4
; NamedBarCnt: 0
; Occupancy: 16
; WaveLimiterHint : 0
; COMPUTE_PGM_RSRC2:SCRATCH_EN: 0
; COMPUTE_PGM_RSRC2:USER_SGPR: 2
; COMPUTE_PGM_RSRC2:TRAP_HANDLER: 0
; COMPUTE_PGM_RSRC2:TGID_X_EN: 1
; COMPUTE_PGM_RSRC2:TGID_Y_EN: 0
; COMPUTE_PGM_RSRC2:TGID_Z_EN: 0
; COMPUTE_PGM_RSRC2:TIDIG_COMP_CNT: 0
	.section	.text._Z25blocked_to_striped_kernelIyyLj128ELj1EEvPT_PT0_,"axG",@progbits,_Z25blocked_to_striped_kernelIyyLj128ELj1EEvPT_PT0_,comdat
	.protected	_Z25blocked_to_striped_kernelIyyLj128ELj1EEvPT_PT0_ ; -- Begin function _Z25blocked_to_striped_kernelIyyLj128ELj1EEvPT_PT0_
	.globl	_Z25blocked_to_striped_kernelIyyLj128ELj1EEvPT_PT0_
	.p2align	8
	.type	_Z25blocked_to_striped_kernelIyyLj128ELj1EEvPT_PT0_,@function
_Z25blocked_to_striped_kernelIyyLj128ELj1EEvPT_PT0_: ; @_Z25blocked_to_striped_kernelIyyLj128ELj1EEvPT_PT0_
; %bb.0:
	s_load_b128 s[0:3], s[0:1], 0x0
	s_bfe_u32 s4, ttmp6, 0x4000c
	s_and_b32 s5, ttmp6, 15
	s_add_co_i32 s4, s4, 1
	s_getreg_b32 s6, hwreg(HW_REG_IB_STS2, 6, 4)
	s_mul_i32 s4, ttmp9, s4
	v_lshlrev_b32_e32 v1, 3, v0
	s_add_co_i32 s5, s5, s4
	s_cmp_eq_u32 s6, 0
	s_cselect_b32 s4, ttmp9, s5
	s_mov_b32 s5, 0
	s_lshl_b32 s4, s4, 7
	s_delay_alu instid0(SALU_CYCLE_1)
	s_lshl_b64 s[4:5], s[4:5], 3
	s_wait_kmcnt 0x0
	s_add_nc_u64 s[0:1], s[0:1], s[4:5]
	global_load_b64 v[2:3], v0, s[0:1] scale_offset
	s_wait_xcnt 0x0
	s_add_nc_u64 s[0:1], s[2:3], s[4:5]
	s_wait_loadcnt 0x0
	ds_store_b64 v1, v[2:3]
	s_wait_dscnt 0x0
	s_barrier_signal -1
	s_barrier_wait -1
	ds_load_b64 v[2:3], v1
	s_wait_dscnt 0x0
	global_store_b64 v0, v[2:3], s[0:1] scale_offset
	s_endpgm
	.section	.rodata,"a",@progbits
	.p2align	6, 0x0
	.amdhsa_kernel _Z25blocked_to_striped_kernelIyyLj128ELj1EEvPT_PT0_
		.amdhsa_group_segment_fixed_size 1024
		.amdhsa_private_segment_fixed_size 0
		.amdhsa_kernarg_size 16
		.amdhsa_user_sgpr_count 2
		.amdhsa_user_sgpr_dispatch_ptr 0
		.amdhsa_user_sgpr_queue_ptr 0
		.amdhsa_user_sgpr_kernarg_segment_ptr 1
		.amdhsa_user_sgpr_dispatch_id 0
		.amdhsa_user_sgpr_kernarg_preload_length 0
		.amdhsa_user_sgpr_kernarg_preload_offset 0
		.amdhsa_user_sgpr_private_segment_size 0
		.amdhsa_wavefront_size32 1
		.amdhsa_uses_dynamic_stack 0
		.amdhsa_enable_private_segment 0
		.amdhsa_system_sgpr_workgroup_id_x 1
		.amdhsa_system_sgpr_workgroup_id_y 0
		.amdhsa_system_sgpr_workgroup_id_z 0
		.amdhsa_system_sgpr_workgroup_info 0
		.amdhsa_system_vgpr_workitem_id 0
		.amdhsa_next_free_vgpr 4
		.amdhsa_next_free_sgpr 7
		.amdhsa_named_barrier_count 0
		.amdhsa_reserve_vcc 0
		.amdhsa_float_round_mode_32 0
		.amdhsa_float_round_mode_16_64 0
		.amdhsa_float_denorm_mode_32 3
		.amdhsa_float_denorm_mode_16_64 3
		.amdhsa_fp16_overflow 0
		.amdhsa_memory_ordered 1
		.amdhsa_forward_progress 1
		.amdhsa_inst_pref_size 2
		.amdhsa_round_robin_scheduling 0
		.amdhsa_exception_fp_ieee_invalid_op 0
		.amdhsa_exception_fp_denorm_src 0
		.amdhsa_exception_fp_ieee_div_zero 0
		.amdhsa_exception_fp_ieee_overflow 0
		.amdhsa_exception_fp_ieee_underflow 0
		.amdhsa_exception_fp_ieee_inexact 0
		.amdhsa_exception_int_div_zero 0
	.end_amdhsa_kernel
	.section	.text._Z25blocked_to_striped_kernelIyyLj128ELj1EEvPT_PT0_,"axG",@progbits,_Z25blocked_to_striped_kernelIyyLj128ELj1EEvPT_PT0_,comdat
.Lfunc_end13:
	.size	_Z25blocked_to_striped_kernelIyyLj128ELj1EEvPT_PT0_, .Lfunc_end13-_Z25blocked_to_striped_kernelIyyLj128ELj1EEvPT_PT0_
                                        ; -- End function
	.set _Z25blocked_to_striped_kernelIyyLj128ELj1EEvPT_PT0_.num_vgpr, 4
	.set _Z25blocked_to_striped_kernelIyyLj128ELj1EEvPT_PT0_.num_agpr, 0
	.set _Z25blocked_to_striped_kernelIyyLj128ELj1EEvPT_PT0_.numbered_sgpr, 7
	.set _Z25blocked_to_striped_kernelIyyLj128ELj1EEvPT_PT0_.num_named_barrier, 0
	.set _Z25blocked_to_striped_kernelIyyLj128ELj1EEvPT_PT0_.private_seg_size, 0
	.set _Z25blocked_to_striped_kernelIyyLj128ELj1EEvPT_PT0_.uses_vcc, 0
	.set _Z25blocked_to_striped_kernelIyyLj128ELj1EEvPT_PT0_.uses_flat_scratch, 0
	.set _Z25blocked_to_striped_kernelIyyLj128ELj1EEvPT_PT0_.has_dyn_sized_stack, 0
	.set _Z25blocked_to_striped_kernelIyyLj128ELj1EEvPT_PT0_.has_recursion, 0
	.set _Z25blocked_to_striped_kernelIyyLj128ELj1EEvPT_PT0_.has_indirect_call, 0
	.section	.AMDGPU.csdata,"",@progbits
; Kernel info:
; codeLenInByte = 144
; TotalNumSgprs: 7
; NumVgprs: 4
; ScratchSize: 0
; MemoryBound: 0
; FloatMode: 240
; IeeeMode: 1
; LDSByteSize: 1024 bytes/workgroup (compile time only)
; SGPRBlocks: 0
; VGPRBlocks: 0
; NumSGPRsForWavesPerEU: 7
; NumVGPRsForWavesPerEU: 4
; NamedBarCnt: 0
; Occupancy: 16
; WaveLimiterHint : 0
; COMPUTE_PGM_RSRC2:SCRATCH_EN: 0
; COMPUTE_PGM_RSRC2:USER_SGPR: 2
; COMPUTE_PGM_RSRC2:TRAP_HANDLER: 0
; COMPUTE_PGM_RSRC2:TGID_X_EN: 1
; COMPUTE_PGM_RSRC2:TGID_Y_EN: 0
; COMPUTE_PGM_RSRC2:TGID_Z_EN: 0
; COMPUTE_PGM_RSRC2:TIDIG_COMP_CNT: 0
	.section	.text._Z25blocked_to_striped_kernelIixLj64ELj1EEvPT_PT0_,"axG",@progbits,_Z25blocked_to_striped_kernelIixLj64ELj1EEvPT_PT0_,comdat
	.protected	_Z25blocked_to_striped_kernelIixLj64ELj1EEvPT_PT0_ ; -- Begin function _Z25blocked_to_striped_kernelIixLj64ELj1EEvPT_PT0_
	.globl	_Z25blocked_to_striped_kernelIixLj64ELj1EEvPT_PT0_
	.p2align	8
	.type	_Z25blocked_to_striped_kernelIixLj64ELj1EEvPT_PT0_,@function
_Z25blocked_to_striped_kernelIixLj64ELj1EEvPT_PT0_: ; @_Z25blocked_to_striped_kernelIixLj64ELj1EEvPT_PT0_
; %bb.0:
	s_load_b128 s[0:3], s[0:1], 0x0
	s_bfe_u32 s4, ttmp6, 0x4000c
	s_and_b32 s5, ttmp6, 15
	s_add_co_i32 s4, s4, 1
	s_getreg_b32 s6, hwreg(HW_REG_IB_STS2, 6, 4)
	s_mul_i32 s4, ttmp9, s4
	v_lshlrev_b32_e32 v2, 2, v0
	s_add_co_i32 s5, s5, s4
	s_cmp_eq_u32 s6, 0
	s_cselect_b32 s4, ttmp9, s5
	s_mov_b32 s5, 0
	s_lshl_b32 s4, s4, 6
	s_delay_alu instid0(SALU_CYCLE_1)
	s_lshl_b64 s[6:7], s[4:5], 2
	s_wait_kmcnt 0x0
	s_add_nc_u64 s[0:1], s[0:1], s[6:7]
	global_load_b32 v1, v0, s[0:1] scale_offset
	s_wait_xcnt 0x0
	s_lshl_b64 s[0:1], s[4:5], 3
	s_delay_alu instid0(SALU_CYCLE_1)
	s_add_nc_u64 s[0:1], s[2:3], s[0:1]
	s_wait_loadcnt 0x0
	ds_store_b32 v2, v1
	s_wait_dscnt 0x0
	s_barrier_signal -1
	s_barrier_wait -1
	ds_load_b32 v2, v2
	s_wait_dscnt 0x0
	v_ashrrev_i32_e32 v3, 31, v2
	global_store_b64 v0, v[2:3], s[0:1] scale_offset
	s_endpgm
	.section	.rodata,"a",@progbits
	.p2align	6, 0x0
	.amdhsa_kernel _Z25blocked_to_striped_kernelIixLj64ELj1EEvPT_PT0_
		.amdhsa_group_segment_fixed_size 256
		.amdhsa_private_segment_fixed_size 0
		.amdhsa_kernarg_size 16
		.amdhsa_user_sgpr_count 2
		.amdhsa_user_sgpr_dispatch_ptr 0
		.amdhsa_user_sgpr_queue_ptr 0
		.amdhsa_user_sgpr_kernarg_segment_ptr 1
		.amdhsa_user_sgpr_dispatch_id 0
		.amdhsa_user_sgpr_kernarg_preload_length 0
		.amdhsa_user_sgpr_kernarg_preload_offset 0
		.amdhsa_user_sgpr_private_segment_size 0
		.amdhsa_wavefront_size32 1
		.amdhsa_uses_dynamic_stack 0
		.amdhsa_enable_private_segment 0
		.amdhsa_system_sgpr_workgroup_id_x 1
		.amdhsa_system_sgpr_workgroup_id_y 0
		.amdhsa_system_sgpr_workgroup_id_z 0
		.amdhsa_system_sgpr_workgroup_info 0
		.amdhsa_system_vgpr_workitem_id 0
		.amdhsa_next_free_vgpr 4
		.amdhsa_next_free_sgpr 8
		.amdhsa_named_barrier_count 0
		.amdhsa_reserve_vcc 0
		.amdhsa_float_round_mode_32 0
		.amdhsa_float_round_mode_16_64 0
		.amdhsa_float_denorm_mode_32 3
		.amdhsa_float_denorm_mode_16_64 3
		.amdhsa_fp16_overflow 0
		.amdhsa_memory_ordered 1
		.amdhsa_forward_progress 1
		.amdhsa_inst_pref_size 2
		.amdhsa_round_robin_scheduling 0
		.amdhsa_exception_fp_ieee_invalid_op 0
		.amdhsa_exception_fp_denorm_src 0
		.amdhsa_exception_fp_ieee_div_zero 0
		.amdhsa_exception_fp_ieee_overflow 0
		.amdhsa_exception_fp_ieee_underflow 0
		.amdhsa_exception_fp_ieee_inexact 0
		.amdhsa_exception_int_div_zero 0
	.end_amdhsa_kernel
	.section	.text._Z25blocked_to_striped_kernelIixLj64ELj1EEvPT_PT0_,"axG",@progbits,_Z25blocked_to_striped_kernelIixLj64ELj1EEvPT_PT0_,comdat
.Lfunc_end14:
	.size	_Z25blocked_to_striped_kernelIixLj64ELj1EEvPT_PT0_, .Lfunc_end14-_Z25blocked_to_striped_kernelIixLj64ELj1EEvPT_PT0_
                                        ; -- End function
	.set _Z25blocked_to_striped_kernelIixLj64ELj1EEvPT_PT0_.num_vgpr, 4
	.set _Z25blocked_to_striped_kernelIixLj64ELj1EEvPT_PT0_.num_agpr, 0
	.set _Z25blocked_to_striped_kernelIixLj64ELj1EEvPT_PT0_.numbered_sgpr, 8
	.set _Z25blocked_to_striped_kernelIixLj64ELj1EEvPT_PT0_.num_named_barrier, 0
	.set _Z25blocked_to_striped_kernelIixLj64ELj1EEvPT_PT0_.private_seg_size, 0
	.set _Z25blocked_to_striped_kernelIixLj64ELj1EEvPT_PT0_.uses_vcc, 0
	.set _Z25blocked_to_striped_kernelIixLj64ELj1EEvPT_PT0_.uses_flat_scratch, 0
	.set _Z25blocked_to_striped_kernelIixLj64ELj1EEvPT_PT0_.has_dyn_sized_stack, 0
	.set _Z25blocked_to_striped_kernelIixLj64ELj1EEvPT_PT0_.has_recursion, 0
	.set _Z25blocked_to_striped_kernelIixLj64ELj1EEvPT_PT0_.has_indirect_call, 0
	.section	.AMDGPU.csdata,"",@progbits
; Kernel info:
; codeLenInByte = 156
; TotalNumSgprs: 8
; NumVgprs: 4
; ScratchSize: 0
; MemoryBound: 0
; FloatMode: 240
; IeeeMode: 1
; LDSByteSize: 256 bytes/workgroup (compile time only)
; SGPRBlocks: 0
; VGPRBlocks: 0
; NumSGPRsForWavesPerEU: 8
; NumVGPRsForWavesPerEU: 4
; NamedBarCnt: 0
; Occupancy: 16
; WaveLimiterHint : 0
; COMPUTE_PGM_RSRC2:SCRATCH_EN: 0
; COMPUTE_PGM_RSRC2:USER_SGPR: 2
; COMPUTE_PGM_RSRC2:TRAP_HANDLER: 0
; COMPUTE_PGM_RSRC2:TGID_X_EN: 1
; COMPUTE_PGM_RSRC2:TGID_Y_EN: 0
; COMPUTE_PGM_RSRC2:TGID_Z_EN: 0
; COMPUTE_PGM_RSRC2:TIDIG_COMP_CNT: 0
	.section	.text._Z25blocked_to_striped_kernelI6__halfS0_Lj512ELj4EEvPT_PT0_,"axG",@progbits,_Z25blocked_to_striped_kernelI6__halfS0_Lj512ELj4EEvPT_PT0_,comdat
	.protected	_Z25blocked_to_striped_kernelI6__halfS0_Lj512ELj4EEvPT_PT0_ ; -- Begin function _Z25blocked_to_striped_kernelI6__halfS0_Lj512ELj4EEvPT_PT0_
	.globl	_Z25blocked_to_striped_kernelI6__halfS0_Lj512ELj4EEvPT_PT0_
	.p2align	8
	.type	_Z25blocked_to_striped_kernelI6__halfS0_Lj512ELj4EEvPT_PT0_,@function
_Z25blocked_to_striped_kernelI6__halfS0_Lj512ELj4EEvPT_PT0_: ; @_Z25blocked_to_striped_kernelI6__halfS0_Lj512ELj4EEvPT_PT0_
; %bb.0:
	s_load_b128 s[0:3], s[0:1], 0x0
	s_bfe_u32 s4, ttmp6, 0x4000c
	s_and_b32 s5, ttmp6, 15
	s_add_co_i32 s4, s4, 1
	s_getreg_b32 s6, hwreg(HW_REG_IB_STS2, 6, 4)
	s_mul_i32 s4, ttmp9, s4
	v_add_nc_u32_e32 v4, 0x80, v0
	s_add_co_i32 s5, s5, s4
	s_cmp_eq_u32 s6, 0
	v_add_nc_u32_e32 v5, 0x100, v0
	s_cselect_b32 s4, ttmp9, s5
	s_mov_b32 s5, 0
	s_lshl_b32 s4, s4, 9
	v_add_nc_u32_e32 v6, 0x180, v0
	s_lshl_b64 s[4:5], s[4:5], 1
	v_lshrrev_b32_e32 v4, 4, v4
	v_dual_lshrrev_b32 v1, 2, v0 :: v_dual_lshrrev_b32 v7, 4, v0
	v_dual_lshlrev_b32 v8, 1, v0 :: v_dual_lshrrev_b32 v5, 4, v5
	s_wait_kmcnt 0x0
	s_add_nc_u64 s[0:1], s[0:1], s[4:5]
	v_lshrrev_b32_e32 v6, 4, v6
	global_load_b64 v[2:3], v0, s[0:1] scale_offset
	v_and_b32_e32 v4, 60, v4
	v_and_b32_e32 v7, 28, v7
	v_and_b32_e32 v1, 0x7c, v1
	s_wait_xcnt 0x0
	s_add_nc_u64 s[0:1], s[2:3], s[4:5]
	v_dual_add_nc_u32 v4, v4, v8 :: v_dual_bitop2_b32 v5, 60, v5 bitop3:0x40
	v_dual_add_nc_u32 v7, v7, v8 :: v_dual_bitop2_b32 v6, 60, v6 bitop3:0x40
	v_lshl_add_u32 v1, v0, 3, v1
	s_delay_alu instid0(VALU_DEP_2)
	v_dual_add_nc_u32 v5, v5, v8 :: v_dual_add_nc_u32 v6, v6, v8
	s_wait_loadcnt 0x0
	ds_store_2addr_b32 v1, v2, v3 offset1:1
	s_wait_dscnt 0x0
	s_barrier_signal -1
	s_barrier_wait -1
	ds_load_u16 v1, v7
	ds_load_u16 v2, v5 offset:512
	ds_load_u16 v3, v6 offset:768
	;; [unrolled: 1-line block ×3, first 2 shown]
	s_wait_dscnt 0x1
	v_perm_b32 v3, v3, v2, 0x5040100
	s_wait_dscnt 0x0
	v_perm_b32 v2, v4, v1, 0x5040100
	global_store_b64 v0, v[2:3], s[0:1] scale_offset
	s_endpgm
	.section	.rodata,"a",@progbits
	.p2align	6, 0x0
	.amdhsa_kernel _Z25blocked_to_striped_kernelI6__halfS0_Lj512ELj4EEvPT_PT0_
		.amdhsa_group_segment_fixed_size 1056
		.amdhsa_private_segment_fixed_size 0
		.amdhsa_kernarg_size 16
		.amdhsa_user_sgpr_count 2
		.amdhsa_user_sgpr_dispatch_ptr 0
		.amdhsa_user_sgpr_queue_ptr 0
		.amdhsa_user_sgpr_kernarg_segment_ptr 1
		.amdhsa_user_sgpr_dispatch_id 0
		.amdhsa_user_sgpr_kernarg_preload_length 0
		.amdhsa_user_sgpr_kernarg_preload_offset 0
		.amdhsa_user_sgpr_private_segment_size 0
		.amdhsa_wavefront_size32 1
		.amdhsa_uses_dynamic_stack 0
		.amdhsa_enable_private_segment 0
		.amdhsa_system_sgpr_workgroup_id_x 1
		.amdhsa_system_sgpr_workgroup_id_y 0
		.amdhsa_system_sgpr_workgroup_id_z 0
		.amdhsa_system_sgpr_workgroup_info 0
		.amdhsa_system_vgpr_workitem_id 0
		.amdhsa_next_free_vgpr 9
		.amdhsa_next_free_sgpr 7
		.amdhsa_named_barrier_count 0
		.amdhsa_reserve_vcc 0
		.amdhsa_float_round_mode_32 0
		.amdhsa_float_round_mode_16_64 0
		.amdhsa_float_denorm_mode_32 3
		.amdhsa_float_denorm_mode_16_64 3
		.amdhsa_fp16_overflow 0
		.amdhsa_memory_ordered 1
		.amdhsa_forward_progress 1
		.amdhsa_inst_pref_size 3
		.amdhsa_round_robin_scheduling 0
		.amdhsa_exception_fp_ieee_invalid_op 0
		.amdhsa_exception_fp_denorm_src 0
		.amdhsa_exception_fp_ieee_div_zero 0
		.amdhsa_exception_fp_ieee_overflow 0
		.amdhsa_exception_fp_ieee_underflow 0
		.amdhsa_exception_fp_ieee_inexact 0
		.amdhsa_exception_int_div_zero 0
	.end_amdhsa_kernel
	.section	.text._Z25blocked_to_striped_kernelI6__halfS0_Lj512ELj4EEvPT_PT0_,"axG",@progbits,_Z25blocked_to_striped_kernelI6__halfS0_Lj512ELj4EEvPT_PT0_,comdat
.Lfunc_end15:
	.size	_Z25blocked_to_striped_kernelI6__halfS0_Lj512ELj4EEvPT_PT0_, .Lfunc_end15-_Z25blocked_to_striped_kernelI6__halfS0_Lj512ELj4EEvPT_PT0_
                                        ; -- End function
	.set _Z25blocked_to_striped_kernelI6__halfS0_Lj512ELj4EEvPT_PT0_.num_vgpr, 9
	.set _Z25blocked_to_striped_kernelI6__halfS0_Lj512ELj4EEvPT_PT0_.num_agpr, 0
	.set _Z25blocked_to_striped_kernelI6__halfS0_Lj512ELj4EEvPT_PT0_.numbered_sgpr, 7
	.set _Z25blocked_to_striped_kernelI6__halfS0_Lj512ELj4EEvPT_PT0_.num_named_barrier, 0
	.set _Z25blocked_to_striped_kernelI6__halfS0_Lj512ELj4EEvPT_PT0_.private_seg_size, 0
	.set _Z25blocked_to_striped_kernelI6__halfS0_Lj512ELj4EEvPT_PT0_.uses_vcc, 0
	.set _Z25blocked_to_striped_kernelI6__halfS0_Lj512ELj4EEvPT_PT0_.uses_flat_scratch, 0
	.set _Z25blocked_to_striped_kernelI6__halfS0_Lj512ELj4EEvPT_PT0_.has_dyn_sized_stack, 0
	.set _Z25blocked_to_striped_kernelI6__halfS0_Lj512ELj4EEvPT_PT0_.has_recursion, 0
	.set _Z25blocked_to_striped_kernelI6__halfS0_Lj512ELj4EEvPT_PT0_.has_indirect_call, 0
	.section	.AMDGPU.csdata,"",@progbits
; Kernel info:
; codeLenInByte = 308
; TotalNumSgprs: 7
; NumVgprs: 9
; ScratchSize: 0
; MemoryBound: 0
; FloatMode: 240
; IeeeMode: 1
; LDSByteSize: 1056 bytes/workgroup (compile time only)
; SGPRBlocks: 0
; VGPRBlocks: 0
; NumSGPRsForWavesPerEU: 7
; NumVGPRsForWavesPerEU: 9
; NamedBarCnt: 0
; Occupancy: 16
; WaveLimiterHint : 0
; COMPUTE_PGM_RSRC2:SCRATCH_EN: 0
; COMPUTE_PGM_RSRC2:USER_SGPR: 2
; COMPUTE_PGM_RSRC2:TRAP_HANDLER: 0
; COMPUTE_PGM_RSRC2:TGID_X_EN: 1
; COMPUTE_PGM_RSRC2:TGID_Y_EN: 0
; COMPUTE_PGM_RSRC2:TGID_Z_EN: 0
; COMPUTE_PGM_RSRC2:TIDIG_COMP_CNT: 0
	.section	.text._Z25blocked_to_striped_kernelI12hip_bfloat16S0_Lj512ELj4EEvPT_PT0_,"axG",@progbits,_Z25blocked_to_striped_kernelI12hip_bfloat16S0_Lj512ELj4EEvPT_PT0_,comdat
	.protected	_Z25blocked_to_striped_kernelI12hip_bfloat16S0_Lj512ELj4EEvPT_PT0_ ; -- Begin function _Z25blocked_to_striped_kernelI12hip_bfloat16S0_Lj512ELj4EEvPT_PT0_
	.globl	_Z25blocked_to_striped_kernelI12hip_bfloat16S0_Lj512ELj4EEvPT_PT0_
	.p2align	8
	.type	_Z25blocked_to_striped_kernelI12hip_bfloat16S0_Lj512ELj4EEvPT_PT0_,@function
_Z25blocked_to_striped_kernelI12hip_bfloat16S0_Lj512ELj4EEvPT_PT0_: ; @_Z25blocked_to_striped_kernelI12hip_bfloat16S0_Lj512ELj4EEvPT_PT0_
; %bb.0:
	s_load_b128 s[0:3], s[0:1], 0x0
	s_bfe_u32 s4, ttmp6, 0x4000c
	s_and_b32 s5, ttmp6, 15
	s_add_co_i32 s4, s4, 1
	s_getreg_b32 s6, hwreg(HW_REG_IB_STS2, 6, 4)
	s_mul_i32 s4, ttmp9, s4
	v_add_nc_u32_e32 v4, 0x80, v0
	s_add_co_i32 s5, s5, s4
	s_cmp_eq_u32 s6, 0
	v_add_nc_u32_e32 v5, 0x100, v0
	s_cselect_b32 s4, ttmp9, s5
	s_mov_b32 s5, 0
	s_lshl_b32 s4, s4, 9
	v_add_nc_u32_e32 v6, 0x180, v0
	s_lshl_b64 s[4:5], s[4:5], 1
	v_lshrrev_b32_e32 v4, 4, v4
	v_dual_lshrrev_b32 v1, 2, v0 :: v_dual_lshrrev_b32 v7, 4, v0
	v_dual_lshlrev_b32 v8, 1, v0 :: v_dual_lshrrev_b32 v5, 4, v5
	s_wait_kmcnt 0x0
	s_add_nc_u64 s[0:1], s[0:1], s[4:5]
	v_lshrrev_b32_e32 v6, 4, v6
	global_load_b64 v[2:3], v0, s[0:1] scale_offset
	v_and_b32_e32 v4, 60, v4
	v_and_b32_e32 v7, 28, v7
	;; [unrolled: 1-line block ×3, first 2 shown]
	s_wait_xcnt 0x0
	s_add_nc_u64 s[0:1], s[2:3], s[4:5]
	v_dual_add_nc_u32 v4, v4, v8 :: v_dual_bitop2_b32 v5, 60, v5 bitop3:0x40
	v_dual_add_nc_u32 v7, v7, v8 :: v_dual_bitop2_b32 v6, 60, v6 bitop3:0x40
	v_lshl_add_u32 v1, v0, 3, v1
	s_delay_alu instid0(VALU_DEP_2)
	v_dual_add_nc_u32 v5, v5, v8 :: v_dual_add_nc_u32 v6, v6, v8
	s_wait_loadcnt 0x0
	ds_store_2addr_b32 v1, v2, v3 offset1:1
	s_wait_dscnt 0x0
	s_barrier_signal -1
	s_barrier_wait -1
	ds_load_u16 v1, v7
	ds_load_u16 v2, v5 offset:512
	ds_load_u16 v3, v6 offset:768
	;; [unrolled: 1-line block ×3, first 2 shown]
	s_wait_dscnt 0x1
	v_perm_b32 v3, v3, v2, 0x5040100
	s_wait_dscnt 0x0
	v_perm_b32 v2, v4, v1, 0x5040100
	global_store_b64 v0, v[2:3], s[0:1] scale_offset
	s_endpgm
	.section	.rodata,"a",@progbits
	.p2align	6, 0x0
	.amdhsa_kernel _Z25blocked_to_striped_kernelI12hip_bfloat16S0_Lj512ELj4EEvPT_PT0_
		.amdhsa_group_segment_fixed_size 1056
		.amdhsa_private_segment_fixed_size 0
		.amdhsa_kernarg_size 16
		.amdhsa_user_sgpr_count 2
		.amdhsa_user_sgpr_dispatch_ptr 0
		.amdhsa_user_sgpr_queue_ptr 0
		.amdhsa_user_sgpr_kernarg_segment_ptr 1
		.amdhsa_user_sgpr_dispatch_id 0
		.amdhsa_user_sgpr_kernarg_preload_length 0
		.amdhsa_user_sgpr_kernarg_preload_offset 0
		.amdhsa_user_sgpr_private_segment_size 0
		.amdhsa_wavefront_size32 1
		.amdhsa_uses_dynamic_stack 0
		.amdhsa_enable_private_segment 0
		.amdhsa_system_sgpr_workgroup_id_x 1
		.amdhsa_system_sgpr_workgroup_id_y 0
		.amdhsa_system_sgpr_workgroup_id_z 0
		.amdhsa_system_sgpr_workgroup_info 0
		.amdhsa_system_vgpr_workitem_id 0
		.amdhsa_next_free_vgpr 9
		.amdhsa_next_free_sgpr 7
		.amdhsa_named_barrier_count 0
		.amdhsa_reserve_vcc 0
		.amdhsa_float_round_mode_32 0
		.amdhsa_float_round_mode_16_64 0
		.amdhsa_float_denorm_mode_32 3
		.amdhsa_float_denorm_mode_16_64 3
		.amdhsa_fp16_overflow 0
		.amdhsa_memory_ordered 1
		.amdhsa_forward_progress 1
		.amdhsa_inst_pref_size 3
		.amdhsa_round_robin_scheduling 0
		.amdhsa_exception_fp_ieee_invalid_op 0
		.amdhsa_exception_fp_denorm_src 0
		.amdhsa_exception_fp_ieee_div_zero 0
		.amdhsa_exception_fp_ieee_overflow 0
		.amdhsa_exception_fp_ieee_underflow 0
		.amdhsa_exception_fp_ieee_inexact 0
		.amdhsa_exception_int_div_zero 0
	.end_amdhsa_kernel
	.section	.text._Z25blocked_to_striped_kernelI12hip_bfloat16S0_Lj512ELj4EEvPT_PT0_,"axG",@progbits,_Z25blocked_to_striped_kernelI12hip_bfloat16S0_Lj512ELj4EEvPT_PT0_,comdat
.Lfunc_end16:
	.size	_Z25blocked_to_striped_kernelI12hip_bfloat16S0_Lj512ELj4EEvPT_PT0_, .Lfunc_end16-_Z25blocked_to_striped_kernelI12hip_bfloat16S0_Lj512ELj4EEvPT_PT0_
                                        ; -- End function
	.set _Z25blocked_to_striped_kernelI12hip_bfloat16S0_Lj512ELj4EEvPT_PT0_.num_vgpr, 9
	.set _Z25blocked_to_striped_kernelI12hip_bfloat16S0_Lj512ELj4EEvPT_PT0_.num_agpr, 0
	.set _Z25blocked_to_striped_kernelI12hip_bfloat16S0_Lj512ELj4EEvPT_PT0_.numbered_sgpr, 7
	.set _Z25blocked_to_striped_kernelI12hip_bfloat16S0_Lj512ELj4EEvPT_PT0_.num_named_barrier, 0
	.set _Z25blocked_to_striped_kernelI12hip_bfloat16S0_Lj512ELj4EEvPT_PT0_.private_seg_size, 0
	.set _Z25blocked_to_striped_kernelI12hip_bfloat16S0_Lj512ELj4EEvPT_PT0_.uses_vcc, 0
	.set _Z25blocked_to_striped_kernelI12hip_bfloat16S0_Lj512ELj4EEvPT_PT0_.uses_flat_scratch, 0
	.set _Z25blocked_to_striped_kernelI12hip_bfloat16S0_Lj512ELj4EEvPT_PT0_.has_dyn_sized_stack, 0
	.set _Z25blocked_to_striped_kernelI12hip_bfloat16S0_Lj512ELj4EEvPT_PT0_.has_recursion, 0
	.set _Z25blocked_to_striped_kernelI12hip_bfloat16S0_Lj512ELj4EEvPT_PT0_.has_indirect_call, 0
	.section	.AMDGPU.csdata,"",@progbits
; Kernel info:
; codeLenInByte = 308
; TotalNumSgprs: 7
; NumVgprs: 9
; ScratchSize: 0
; MemoryBound: 0
; FloatMode: 240
; IeeeMode: 1
; LDSByteSize: 1056 bytes/workgroup (compile time only)
; SGPRBlocks: 0
; VGPRBlocks: 0
; NumSGPRsForWavesPerEU: 7
; NumVGPRsForWavesPerEU: 9
; NamedBarCnt: 0
; Occupancy: 16
; WaveLimiterHint : 0
; COMPUTE_PGM_RSRC2:SCRATCH_EN: 0
; COMPUTE_PGM_RSRC2:USER_SGPR: 2
; COMPUTE_PGM_RSRC2:TRAP_HANDLER: 0
; COMPUTE_PGM_RSRC2:TGID_X_EN: 1
; COMPUTE_PGM_RSRC2:TGID_Y_EN: 0
; COMPUTE_PGM_RSRC2:TGID_Z_EN: 0
; COMPUTE_PGM_RSRC2:TIDIG_COMP_CNT: 0
	.section	.text._Z25blocked_to_striped_kernelIfdLj512ELj4EEvPT_PT0_,"axG",@progbits,_Z25blocked_to_striped_kernelIfdLj512ELj4EEvPT_PT0_,comdat
	.protected	_Z25blocked_to_striped_kernelIfdLj512ELj4EEvPT_PT0_ ; -- Begin function _Z25blocked_to_striped_kernelIfdLj512ELj4EEvPT_PT0_
	.globl	_Z25blocked_to_striped_kernelIfdLj512ELj4EEvPT_PT0_
	.p2align	8
	.type	_Z25blocked_to_striped_kernelIfdLj512ELj4EEvPT_PT0_,@function
_Z25blocked_to_striped_kernelIfdLj512ELj4EEvPT_PT0_: ; @_Z25blocked_to_striped_kernelIfdLj512ELj4EEvPT_PT0_
; %bb.0:
	s_load_b128 s[0:3], s[0:1], 0x0
	s_bfe_u32 s4, ttmp6, 0x4000c
	s_and_b32 s5, ttmp6, 15
	s_add_co_i32 s4, s4, 1
	s_getreg_b32 s6, hwreg(HW_REG_IB_STS2, 6, 4)
	s_mul_i32 s4, ttmp9, s4
	v_add_nc_u32_e32 v1, 0x80, v0
	s_add_co_i32 s5, s5, s4
	s_cmp_eq_u32 s6, 0
	v_add_nc_u32_e32 v6, 0x100, v0
	s_cselect_b32 s4, ttmp9, s5
	s_mov_b32 s5, 0
	s_lshl_b32 s4, s4, 9
	v_add_nc_u32_e32 v7, 0x180, v0
	s_lshl_b64 s[6:7], s[4:5], 2
	v_dual_lshlrev_b32 v8, 2, v0 :: v_dual_lshrrev_b32 v9, 3, v0
	v_dual_lshrrev_b32 v1, 3, v1 :: v_dual_lshrrev_b32 v6, 3, v6
	s_delay_alu instid0(VALU_DEP_3) | instskip(SKIP_2) | instid1(VALU_DEP_2)
	v_dual_lshrrev_b32 v7, 3, v7 :: v_dual_lshlrev_b32 v10, 4, v0
	s_wait_kmcnt 0x0
	s_add_nc_u64 s[0:1], s[0:1], s[6:7]
	v_and_b32_e32 v1, 0x7c, v1
	global_load_b128 v[2:5], v0, s[0:1] scale_offset
	v_and_b32_e32 v11, 60, v9
	v_and_b32_e32 v6, 0x7c, v6
	;; [unrolled: 1-line block ×3, first 2 shown]
	v_lshl_add_u32 v9, v9, 2, v10
	s_delay_alu instid0(VALU_DEP_4) | instskip(NEXT) | instid1(VALU_DEP_3)
	v_dual_add_nc_u32 v1, v1, v8 :: v_dual_add_nc_u32 v10, v11, v8
	v_dual_add_nc_u32 v6, v6, v8 :: v_dual_add_nc_u32 v7, v7, v8
	s_wait_xcnt 0x0
	v_lshlrev_b32_e32 v0, 5, v0
	s_lshl_b64 s[0:1], s[4:5], 3
	s_wait_loadcnt 0x0
	ds_store_2addr_b32 v9, v2, v3 offset1:1
	ds_store_2addr_b32 v9, v4, v5 offset0:2 offset1:3
	s_wait_dscnt 0x0
	s_barrier_signal -1
	s_barrier_wait -1
	ds_load_b32 v2, v10
	ds_load_b32 v1, v1 offset:512
	ds_load_b32 v6, v6 offset:1024
	;; [unrolled: 1-line block ×3, first 2 shown]
	s_add_nc_u64 s[0:1], s[2:3], s[0:1]
	s_wait_dscnt 0x3
	v_cvt_f64_f32_e32 v[2:3], v2
	s_wait_dscnt 0x2
	v_cvt_f64_f32_e32 v[4:5], v1
	;; [unrolled: 2-line block ×4, first 2 shown]
	s_clause 0x1
	global_store_b128 v0, v[2:5], s[0:1]
	global_store_b128 v0, v[6:9], s[0:1] offset:16
	s_endpgm
	.section	.rodata,"a",@progbits
	.p2align	6, 0x0
	.amdhsa_kernel _Z25blocked_to_striped_kernelIfdLj512ELj4EEvPT_PT0_
		.amdhsa_group_segment_fixed_size 2112
		.amdhsa_private_segment_fixed_size 0
		.amdhsa_kernarg_size 16
		.amdhsa_user_sgpr_count 2
		.amdhsa_user_sgpr_dispatch_ptr 0
		.amdhsa_user_sgpr_queue_ptr 0
		.amdhsa_user_sgpr_kernarg_segment_ptr 1
		.amdhsa_user_sgpr_dispatch_id 0
		.amdhsa_user_sgpr_kernarg_preload_length 0
		.amdhsa_user_sgpr_kernarg_preload_offset 0
		.amdhsa_user_sgpr_private_segment_size 0
		.amdhsa_wavefront_size32 1
		.amdhsa_uses_dynamic_stack 0
		.amdhsa_enable_private_segment 0
		.amdhsa_system_sgpr_workgroup_id_x 1
		.amdhsa_system_sgpr_workgroup_id_y 0
		.amdhsa_system_sgpr_workgroup_id_z 0
		.amdhsa_system_sgpr_workgroup_info 0
		.amdhsa_system_vgpr_workitem_id 0
		.amdhsa_next_free_vgpr 12
		.amdhsa_next_free_sgpr 8
		.amdhsa_named_barrier_count 0
		.amdhsa_reserve_vcc 0
		.amdhsa_float_round_mode_32 0
		.amdhsa_float_round_mode_16_64 0
		.amdhsa_float_denorm_mode_32 3
		.amdhsa_float_denorm_mode_16_64 3
		.amdhsa_fp16_overflow 0
		.amdhsa_memory_ordered 1
		.amdhsa_forward_progress 1
		.amdhsa_inst_pref_size 3
		.amdhsa_round_robin_scheduling 0
		.amdhsa_exception_fp_ieee_invalid_op 0
		.amdhsa_exception_fp_denorm_src 0
		.amdhsa_exception_fp_ieee_div_zero 0
		.amdhsa_exception_fp_ieee_overflow 0
		.amdhsa_exception_fp_ieee_underflow 0
		.amdhsa_exception_fp_ieee_inexact 0
		.amdhsa_exception_int_div_zero 0
	.end_amdhsa_kernel
	.section	.text._Z25blocked_to_striped_kernelIfdLj512ELj4EEvPT_PT0_,"axG",@progbits,_Z25blocked_to_striped_kernelIfdLj512ELj4EEvPT_PT0_,comdat
.Lfunc_end17:
	.size	_Z25blocked_to_striped_kernelIfdLj512ELj4EEvPT_PT0_, .Lfunc_end17-_Z25blocked_to_striped_kernelIfdLj512ELj4EEvPT_PT0_
                                        ; -- End function
	.set _Z25blocked_to_striped_kernelIfdLj512ELj4EEvPT_PT0_.num_vgpr, 12
	.set _Z25blocked_to_striped_kernelIfdLj512ELj4EEvPT_PT0_.num_agpr, 0
	.set _Z25blocked_to_striped_kernelIfdLj512ELj4EEvPT_PT0_.numbered_sgpr, 8
	.set _Z25blocked_to_striped_kernelIfdLj512ELj4EEvPT_PT0_.num_named_barrier, 0
	.set _Z25blocked_to_striped_kernelIfdLj512ELj4EEvPT_PT0_.private_seg_size, 0
	.set _Z25blocked_to_striped_kernelIfdLj512ELj4EEvPT_PT0_.uses_vcc, 0
	.set _Z25blocked_to_striped_kernelIfdLj512ELj4EEvPT_PT0_.uses_flat_scratch, 0
	.set _Z25blocked_to_striped_kernelIfdLj512ELj4EEvPT_PT0_.has_dyn_sized_stack, 0
	.set _Z25blocked_to_striped_kernelIfdLj512ELj4EEvPT_PT0_.has_recursion, 0
	.set _Z25blocked_to_striped_kernelIfdLj512ELj4EEvPT_PT0_.has_indirect_call, 0
	.section	.AMDGPU.csdata,"",@progbits
; Kernel info:
; codeLenInByte = 348
; TotalNumSgprs: 8
; NumVgprs: 12
; ScratchSize: 0
; MemoryBound: 0
; FloatMode: 240
; IeeeMode: 1
; LDSByteSize: 2112 bytes/workgroup (compile time only)
; SGPRBlocks: 0
; VGPRBlocks: 0
; NumSGPRsForWavesPerEU: 8
; NumVGPRsForWavesPerEU: 12
; NamedBarCnt: 0
; Occupancy: 16
; WaveLimiterHint : 0
; COMPUTE_PGM_RSRC2:SCRATCH_EN: 0
; COMPUTE_PGM_RSRC2:USER_SGPR: 2
; COMPUTE_PGM_RSRC2:TRAP_HANDLER: 0
; COMPUTE_PGM_RSRC2:TGID_X_EN: 1
; COMPUTE_PGM_RSRC2:TGID_Y_EN: 0
; COMPUTE_PGM_RSRC2:TGID_Z_EN: 0
; COMPUTE_PGM_RSRC2:TIDIG_COMP_CNT: 0
	.section	.text._Z25blocked_to_striped_kernelIiiLj512ELj4EEvPT_PT0_,"axG",@progbits,_Z25blocked_to_striped_kernelIiiLj512ELj4EEvPT_PT0_,comdat
	.protected	_Z25blocked_to_striped_kernelIiiLj512ELj4EEvPT_PT0_ ; -- Begin function _Z25blocked_to_striped_kernelIiiLj512ELj4EEvPT_PT0_
	.globl	_Z25blocked_to_striped_kernelIiiLj512ELj4EEvPT_PT0_
	.p2align	8
	.type	_Z25blocked_to_striped_kernelIiiLj512ELj4EEvPT_PT0_,@function
_Z25blocked_to_striped_kernelIiiLj512ELj4EEvPT_PT0_: ; @_Z25blocked_to_striped_kernelIiiLj512ELj4EEvPT_PT0_
; %bb.0:
	s_load_b128 s[0:3], s[0:1], 0x0
	s_bfe_u32 s4, ttmp6, 0x4000c
	s_and_b32 s5, ttmp6, 15
	s_add_co_i32 s4, s4, 1
	s_getreg_b32 s6, hwreg(HW_REG_IB_STS2, 6, 4)
	s_mul_i32 s4, ttmp9, s4
	v_add_nc_u32_e32 v1, 0x80, v0
	s_add_co_i32 s5, s5, s4
	s_cmp_eq_u32 s6, 0
	v_add_nc_u32_e32 v6, 0x100, v0
	s_cselect_b32 s4, ttmp9, s5
	s_mov_b32 s5, 0
	s_lshl_b32 s4, s4, 9
	v_add_nc_u32_e32 v7, 0x180, v0
	s_lshl_b64 s[4:5], s[4:5], 2
	v_dual_lshlrev_b32 v8, 2, v0 :: v_dual_lshrrev_b32 v9, 3, v0
	v_dual_lshrrev_b32 v1, 3, v1 :: v_dual_lshrrev_b32 v6, 3, v6
	s_delay_alu instid0(VALU_DEP_3) | instskip(SKIP_2) | instid1(VALU_DEP_2)
	v_dual_lshrrev_b32 v7, 3, v7 :: v_dual_lshlrev_b32 v10, 4, v0
	s_wait_kmcnt 0x0
	s_add_nc_u64 s[0:1], s[0:1], s[4:5]
	v_and_b32_e32 v1, 0x7c, v1
	global_load_b128 v[2:5], v0, s[0:1] scale_offset
	v_and_b32_e32 v11, 60, v9
	v_and_b32_e32 v6, 0x7c, v6
	;; [unrolled: 1-line block ×3, first 2 shown]
	v_lshl_add_u32 v9, v9, 2, v10
	s_delay_alu instid0(VALU_DEP_4) | instskip(NEXT) | instid1(VALU_DEP_3)
	v_dual_add_nc_u32 v1, v1, v8 :: v_dual_add_nc_u32 v10, v11, v8
	v_dual_add_nc_u32 v6, v6, v8 :: v_dual_add_nc_u32 v7, v7, v8
	s_wait_xcnt 0x0
	s_add_nc_u64 s[0:1], s[2:3], s[4:5]
	s_wait_loadcnt 0x0
	ds_store_2addr_b32 v9, v2, v3 offset1:1
	ds_store_2addr_b32 v9, v4, v5 offset0:2 offset1:3
	s_wait_dscnt 0x0
	s_barrier_signal -1
	s_barrier_wait -1
	ds_load_b32 v2, v10
	ds_load_b32 v3, v1 offset:512
	ds_load_b32 v4, v6 offset:1024
	;; [unrolled: 1-line block ×3, first 2 shown]
	s_wait_dscnt 0x0
	global_store_b128 v0, v[2:5], s[0:1] scale_offset
	s_endpgm
	.section	.rodata,"a",@progbits
	.p2align	6, 0x0
	.amdhsa_kernel _Z25blocked_to_striped_kernelIiiLj512ELj4EEvPT_PT0_
		.amdhsa_group_segment_fixed_size 2112
		.amdhsa_private_segment_fixed_size 0
		.amdhsa_kernarg_size 16
		.amdhsa_user_sgpr_count 2
		.amdhsa_user_sgpr_dispatch_ptr 0
		.amdhsa_user_sgpr_queue_ptr 0
		.amdhsa_user_sgpr_kernarg_segment_ptr 1
		.amdhsa_user_sgpr_dispatch_id 0
		.amdhsa_user_sgpr_kernarg_preload_length 0
		.amdhsa_user_sgpr_kernarg_preload_offset 0
		.amdhsa_user_sgpr_private_segment_size 0
		.amdhsa_wavefront_size32 1
		.amdhsa_uses_dynamic_stack 0
		.amdhsa_enable_private_segment 0
		.amdhsa_system_sgpr_workgroup_id_x 1
		.amdhsa_system_sgpr_workgroup_id_y 0
		.amdhsa_system_sgpr_workgroup_id_z 0
		.amdhsa_system_sgpr_workgroup_info 0
		.amdhsa_system_vgpr_workitem_id 0
		.amdhsa_next_free_vgpr 12
		.amdhsa_next_free_sgpr 7
		.amdhsa_named_barrier_count 0
		.amdhsa_reserve_vcc 0
		.amdhsa_float_round_mode_32 0
		.amdhsa_float_round_mode_16_64 0
		.amdhsa_float_denorm_mode_32 3
		.amdhsa_float_denorm_mode_16_64 3
		.amdhsa_fp16_overflow 0
		.amdhsa_memory_ordered 1
		.amdhsa_forward_progress 1
		.amdhsa_inst_pref_size 3
		.amdhsa_round_robin_scheduling 0
		.amdhsa_exception_fp_ieee_invalid_op 0
		.amdhsa_exception_fp_denorm_src 0
		.amdhsa_exception_fp_ieee_div_zero 0
		.amdhsa_exception_fp_ieee_overflow 0
		.amdhsa_exception_fp_ieee_underflow 0
		.amdhsa_exception_fp_ieee_inexact 0
		.amdhsa_exception_int_div_zero 0
	.end_amdhsa_kernel
	.section	.text._Z25blocked_to_striped_kernelIiiLj512ELj4EEvPT_PT0_,"axG",@progbits,_Z25blocked_to_striped_kernelIiiLj512ELj4EEvPT_PT0_,comdat
.Lfunc_end18:
	.size	_Z25blocked_to_striped_kernelIiiLj512ELj4EEvPT_PT0_, .Lfunc_end18-_Z25blocked_to_striped_kernelIiiLj512ELj4EEvPT_PT0_
                                        ; -- End function
	.set _Z25blocked_to_striped_kernelIiiLj512ELj4EEvPT_PT0_.num_vgpr, 12
	.set _Z25blocked_to_striped_kernelIiiLj512ELj4EEvPT_PT0_.num_agpr, 0
	.set _Z25blocked_to_striped_kernelIiiLj512ELj4EEvPT_PT0_.numbered_sgpr, 7
	.set _Z25blocked_to_striped_kernelIiiLj512ELj4EEvPT_PT0_.num_named_barrier, 0
	.set _Z25blocked_to_striped_kernelIiiLj512ELj4EEvPT_PT0_.private_seg_size, 0
	.set _Z25blocked_to_striped_kernelIiiLj512ELj4EEvPT_PT0_.uses_vcc, 0
	.set _Z25blocked_to_striped_kernelIiiLj512ELj4EEvPT_PT0_.uses_flat_scratch, 0
	.set _Z25blocked_to_striped_kernelIiiLj512ELj4EEvPT_PT0_.has_dyn_sized_stack, 0
	.set _Z25blocked_to_striped_kernelIiiLj512ELj4EEvPT_PT0_.has_recursion, 0
	.set _Z25blocked_to_striped_kernelIiiLj512ELj4EEvPT_PT0_.has_indirect_call, 0
	.section	.AMDGPU.csdata,"",@progbits
; Kernel info:
; codeLenInByte = 296
; TotalNumSgprs: 7
; NumVgprs: 12
; ScratchSize: 0
; MemoryBound: 0
; FloatMode: 240
; IeeeMode: 1
; LDSByteSize: 2112 bytes/workgroup (compile time only)
; SGPRBlocks: 0
; VGPRBlocks: 0
; NumSGPRsForWavesPerEU: 7
; NumVGPRsForWavesPerEU: 12
; NamedBarCnt: 0
; Occupancy: 16
; WaveLimiterHint : 0
; COMPUTE_PGM_RSRC2:SCRATCH_EN: 0
; COMPUTE_PGM_RSRC2:USER_SGPR: 2
; COMPUTE_PGM_RSRC2:TRAP_HANDLER: 0
; COMPUTE_PGM_RSRC2:TGID_X_EN: 1
; COMPUTE_PGM_RSRC2:TGID_Y_EN: 0
; COMPUTE_PGM_RSRC2:TGID_Z_EN: 0
; COMPUTE_PGM_RSRC2:TIDIG_COMP_CNT: 0
	.section	.text._Z25striped_to_blocked_kernelIsiLj2106ELj9EEvPT_PT0_,"axG",@progbits,_Z25striped_to_blocked_kernelIsiLj2106ELj9EEvPT_PT0_,comdat
	.protected	_Z25striped_to_blocked_kernelIsiLj2106ELj9EEvPT_PT0_ ; -- Begin function _Z25striped_to_blocked_kernelIsiLj2106ELj9EEvPT_PT0_
	.globl	_Z25striped_to_blocked_kernelIsiLj2106ELj9EEvPT_PT0_
	.p2align	8
	.type	_Z25striped_to_blocked_kernelIsiLj2106ELj9EEvPT_PT0_,@function
_Z25striped_to_blocked_kernelIsiLj2106ELj9EEvPT_PT0_: ; @_Z25striped_to_blocked_kernelIsiLj2106ELj9EEvPT_PT0_
; %bb.0:
	s_load_b128 s[0:3], s[0:1], 0x0
	s_bfe_u32 s4, ttmp6, 0x4000c
	s_and_b32 s5, ttmp6, 15
	s_add_co_i32 s4, s4, 1
	s_getreg_b32 s6, hwreg(HW_REG_IB_STS2, 6, 4)
	s_mul_i32 s4, ttmp9, s4
	v_mul_u32_u24_e32 v12, 9, v0
	s_add_co_i32 s5, s5, s4
	s_cmp_eq_u32 s6, 0
	s_cselect_b32 s4, ttmp9, s5
	s_mov_b32 s5, 0
	s_mulk_i32 s4, 0x83a
	v_dual_lshlrev_b32 v1, 1, v12 :: v_dual_lshlrev_b32 v14, 2, v12
	s_lshl_b64 s[6:7], s[4:5], 1
	s_wait_kmcnt 0x0
	s_add_nc_u64 s[0:1], s[0:1], s[6:7]
	s_clause 0x1
	global_load_b128 v[2:5], v1, s[0:1]
	global_load_u16 v6, v12, s[0:1] offset:16 scale_offset
	s_wait_xcnt 0x1
	v_lshlrev_b32_e32 v1, 1, v0
	s_wait_xcnt 0x0
	s_lshl_b64 s[0:1], s[4:5], 2
	s_wait_loadcnt 0x1
	ds_store_b16 v1, v2
	ds_store_b16_d16_hi v1, v2 offset:468
	ds_store_b16 v1, v3 offset:936
	ds_store_b16_d16_hi v1, v3 offset:1404
	ds_store_b16 v1, v4 offset:1872
	;; [unrolled: 2-line block ×3, first 2 shown]
	ds_store_b16_d16_hi v1, v5 offset:3276
	s_wait_loadcnt 0x0
	ds_store_b16 v1, v6 offset:3744
	v_lshl_add_u32 v7, v0, 4, v1
	s_wait_dscnt 0x0
	s_barrier_signal -1
	s_barrier_wait -1
	ds_load_b128 v[0:3], v7
	ds_load_i16 v13, v7 offset:16
	s_add_nc_u64 s[0:1], s[2:3], s[0:1]
	s_wait_dscnt 0x1
	v_dual_ashrrev_i32 v7, 16, v1 :: v_dual_ashrrev_i32 v9, 16, v2
	v_bfe_i32 v8, v2, 0, 16
	v_ashrrev_i32_e32 v11, 16, v3
	v_bfe_i32 v10, v3, 0, 16
	v_ashrrev_i32_e32 v5, 16, v0
	v_bfe_i32 v4, v0, 0, 16
	v_bfe_i32 v6, v1, 0, 16
	s_clause 0x1
	global_store_b128 v14, v[8:11], s[0:1] offset:16
	global_store_b128 v14, v[4:7], s[0:1]
	s_wait_dscnt 0x0
	global_store_b32 v12, v13, s[0:1] offset:32 scale_offset
	s_endpgm
	.section	.rodata,"a",@progbits
	.p2align	6, 0x0
	.amdhsa_kernel _Z25striped_to_blocked_kernelIsiLj2106ELj9EEvPT_PT0_
		.amdhsa_group_segment_fixed_size 4224
		.amdhsa_private_segment_fixed_size 0
		.amdhsa_kernarg_size 16
		.amdhsa_user_sgpr_count 2
		.amdhsa_user_sgpr_dispatch_ptr 0
		.amdhsa_user_sgpr_queue_ptr 0
		.amdhsa_user_sgpr_kernarg_segment_ptr 1
		.amdhsa_user_sgpr_dispatch_id 0
		.amdhsa_user_sgpr_kernarg_preload_length 0
		.amdhsa_user_sgpr_kernarg_preload_offset 0
		.amdhsa_user_sgpr_private_segment_size 0
		.amdhsa_wavefront_size32 1
		.amdhsa_uses_dynamic_stack 0
		.amdhsa_enable_private_segment 0
		.amdhsa_system_sgpr_workgroup_id_x 1
		.amdhsa_system_sgpr_workgroup_id_y 0
		.amdhsa_system_sgpr_workgroup_id_z 0
		.amdhsa_system_sgpr_workgroup_info 0
		.amdhsa_system_vgpr_workitem_id 0
		.amdhsa_next_free_vgpr 15
		.amdhsa_next_free_sgpr 8
		.amdhsa_named_barrier_count 0
		.amdhsa_reserve_vcc 0
		.amdhsa_float_round_mode_32 0
		.amdhsa_float_round_mode_16_64 0
		.amdhsa_float_denorm_mode_32 3
		.amdhsa_float_denorm_mode_16_64 3
		.amdhsa_fp16_overflow 0
		.amdhsa_memory_ordered 1
		.amdhsa_forward_progress 1
		.amdhsa_inst_pref_size 3
		.amdhsa_round_robin_scheduling 0
		.amdhsa_exception_fp_ieee_invalid_op 0
		.amdhsa_exception_fp_denorm_src 0
		.amdhsa_exception_fp_ieee_div_zero 0
		.amdhsa_exception_fp_ieee_overflow 0
		.amdhsa_exception_fp_ieee_underflow 0
		.amdhsa_exception_fp_ieee_inexact 0
		.amdhsa_exception_int_div_zero 0
	.end_amdhsa_kernel
	.section	.text._Z25striped_to_blocked_kernelIsiLj2106ELj9EEvPT_PT0_,"axG",@progbits,_Z25striped_to_blocked_kernelIsiLj2106ELj9EEvPT_PT0_,comdat
.Lfunc_end19:
	.size	_Z25striped_to_blocked_kernelIsiLj2106ELj9EEvPT_PT0_, .Lfunc_end19-_Z25striped_to_blocked_kernelIsiLj2106ELj9EEvPT_PT0_
                                        ; -- End function
	.set _Z25striped_to_blocked_kernelIsiLj2106ELj9EEvPT_PT0_.num_vgpr, 15
	.set _Z25striped_to_blocked_kernelIsiLj2106ELj9EEvPT_PT0_.num_agpr, 0
	.set _Z25striped_to_blocked_kernelIsiLj2106ELj9EEvPT_PT0_.numbered_sgpr, 8
	.set _Z25striped_to_blocked_kernelIsiLj2106ELj9EEvPT_PT0_.num_named_barrier, 0
	.set _Z25striped_to_blocked_kernelIsiLj2106ELj9EEvPT_PT0_.private_seg_size, 0
	.set _Z25striped_to_blocked_kernelIsiLj2106ELj9EEvPT_PT0_.uses_vcc, 0
	.set _Z25striped_to_blocked_kernelIsiLj2106ELj9EEvPT_PT0_.uses_flat_scratch, 0
	.set _Z25striped_to_blocked_kernelIsiLj2106ELj9EEvPT_PT0_.has_dyn_sized_stack, 0
	.set _Z25striped_to_blocked_kernelIsiLj2106ELj9EEvPT_PT0_.has_recursion, 0
	.set _Z25striped_to_blocked_kernelIsiLj2106ELj9EEvPT_PT0_.has_indirect_call, 0
	.section	.AMDGPU.csdata,"",@progbits
; Kernel info:
; codeLenInByte = 348
; TotalNumSgprs: 8
; NumVgprs: 15
; ScratchSize: 0
; MemoryBound: 0
; FloatMode: 240
; IeeeMode: 1
; LDSByteSize: 4224 bytes/workgroup (compile time only)
; SGPRBlocks: 0
; VGPRBlocks: 0
; NumSGPRsForWavesPerEU: 8
; NumVGPRsForWavesPerEU: 15
; NamedBarCnt: 0
; Occupancy: 16
; WaveLimiterHint : 0
; COMPUTE_PGM_RSRC2:SCRATCH_EN: 0
; COMPUTE_PGM_RSRC2:USER_SGPR: 2
; COMPUTE_PGM_RSRC2:TRAP_HANDLER: 0
; COMPUTE_PGM_RSRC2:TGID_X_EN: 1
; COMPUTE_PGM_RSRC2:TGID_Y_EN: 0
; COMPUTE_PGM_RSRC2:TGID_Z_EN: 0
; COMPUTE_PGM_RSRC2:TIDIG_COMP_CNT: 0
	.section	.text._Z25striped_to_blocked_kernelItjLj300ELj3EEvPT_PT0_,"axG",@progbits,_Z25striped_to_blocked_kernelItjLj300ELj3EEvPT_PT0_,comdat
	.protected	_Z25striped_to_blocked_kernelItjLj300ELj3EEvPT_PT0_ ; -- Begin function _Z25striped_to_blocked_kernelItjLj300ELj3EEvPT_PT0_
	.globl	_Z25striped_to_blocked_kernelItjLj300ELj3EEvPT_PT0_
	.p2align	8
	.type	_Z25striped_to_blocked_kernelItjLj300ELj3EEvPT_PT0_,@function
_Z25striped_to_blocked_kernelItjLj300ELj3EEvPT_PT0_: ; @_Z25striped_to_blocked_kernelItjLj300ELj3EEvPT_PT0_
; %bb.0:
	s_load_b128 s[0:3], s[0:1], 0x0
	s_bfe_u32 s4, ttmp6, 0x4000c
	s_and_b32 s5, ttmp6, 15
	s_add_co_i32 s4, s4, 1
	s_getreg_b32 s6, hwreg(HW_REG_IB_STS2, 6, 4)
	s_mul_i32 s4, ttmp9, s4
	v_mul_u32_u24_e32 v1, 3, v0
	s_add_co_i32 s5, s5, s4
	s_cmp_eq_u32 s6, 0
	s_cselect_b32 s4, ttmp9, s5
	s_mov_b32 s5, 0
	s_mulk_i32 s4, 0x12c
	v_lshlrev_b32_e32 v2, 1, v1
	s_lshl_b64 s[6:7], s[4:5], 1
	s_wait_kmcnt 0x0
	s_add_nc_u64 s[0:1], s[0:1], s[6:7]
	s_clause 0x1
	global_load_b32 v3, v2, s[0:1]
	global_load_u16 v4, v1, s[0:1] offset:4 scale_offset
	s_wait_xcnt 0x1
	v_lshlrev_b32_e32 v2, 1, v0
	s_wait_xcnt 0x0
	s_lshl_b64 s[0:1], s[4:5], 2
	s_wait_loadcnt 0x1
	ds_store_b16 v2, v3
	ds_store_b16_d16_hi v2, v3 offset:200
	s_wait_loadcnt 0x0
	ds_store_b16 v2, v4 offset:400
	v_lshl_add_u32 v0, v0, 2, v2
	s_wait_dscnt 0x0
	s_barrier_signal -1
	s_barrier_wait -1
	ds_load_b32 v3, v0
	ds_load_u16 v2, v0 offset:4
	v_lshlrev_b32_e32 v4, 2, v1
	s_add_nc_u64 s[0:1], s[2:3], s[0:1]
	s_wait_dscnt 0x1
	v_lshrrev_b32_e32 v1, 16, v3
	v_and_b32_e32 v0, 0xffff, v3
	s_wait_dscnt 0x0
	global_store_b96 v4, v[0:2], s[0:1]
	s_endpgm
	.section	.rodata,"a",@progbits
	.p2align	6, 0x0
	.amdhsa_kernel _Z25striped_to_blocked_kernelItjLj300ELj3EEvPT_PT0_
		.amdhsa_group_segment_fixed_size 608
		.amdhsa_private_segment_fixed_size 0
		.amdhsa_kernarg_size 16
		.amdhsa_user_sgpr_count 2
		.amdhsa_user_sgpr_dispatch_ptr 0
		.amdhsa_user_sgpr_queue_ptr 0
		.amdhsa_user_sgpr_kernarg_segment_ptr 1
		.amdhsa_user_sgpr_dispatch_id 0
		.amdhsa_user_sgpr_kernarg_preload_length 0
		.amdhsa_user_sgpr_kernarg_preload_offset 0
		.amdhsa_user_sgpr_private_segment_size 0
		.amdhsa_wavefront_size32 1
		.amdhsa_uses_dynamic_stack 0
		.amdhsa_enable_private_segment 0
		.amdhsa_system_sgpr_workgroup_id_x 1
		.amdhsa_system_sgpr_workgroup_id_y 0
		.amdhsa_system_sgpr_workgroup_id_z 0
		.amdhsa_system_sgpr_workgroup_info 0
		.amdhsa_system_vgpr_workitem_id 0
		.amdhsa_next_free_vgpr 5
		.amdhsa_next_free_sgpr 8
		.amdhsa_named_barrier_count 0
		.amdhsa_reserve_vcc 0
		.amdhsa_float_round_mode_32 0
		.amdhsa_float_round_mode_16_64 0
		.amdhsa_float_denorm_mode_32 3
		.amdhsa_float_denorm_mode_16_64 3
		.amdhsa_fp16_overflow 0
		.amdhsa_memory_ordered 1
		.amdhsa_forward_progress 1
		.amdhsa_inst_pref_size 2
		.amdhsa_round_robin_scheduling 0
		.amdhsa_exception_fp_ieee_invalid_op 0
		.amdhsa_exception_fp_denorm_src 0
		.amdhsa_exception_fp_ieee_div_zero 0
		.amdhsa_exception_fp_ieee_overflow 0
		.amdhsa_exception_fp_ieee_underflow 0
		.amdhsa_exception_fp_ieee_inexact 0
		.amdhsa_exception_int_div_zero 0
	.end_amdhsa_kernel
	.section	.text._Z25striped_to_blocked_kernelItjLj300ELj3EEvPT_PT0_,"axG",@progbits,_Z25striped_to_blocked_kernelItjLj300ELj3EEvPT_PT0_,comdat
.Lfunc_end20:
	.size	_Z25striped_to_blocked_kernelItjLj300ELj3EEvPT_PT0_, .Lfunc_end20-_Z25striped_to_blocked_kernelItjLj300ELj3EEvPT_PT0_
                                        ; -- End function
	.set _Z25striped_to_blocked_kernelItjLj300ELj3EEvPT_PT0_.num_vgpr, 5
	.set _Z25striped_to_blocked_kernelItjLj300ELj3EEvPT_PT0_.num_agpr, 0
	.set _Z25striped_to_blocked_kernelItjLj300ELj3EEvPT_PT0_.numbered_sgpr, 8
	.set _Z25striped_to_blocked_kernelItjLj300ELj3EEvPT_PT0_.num_named_barrier, 0
	.set _Z25striped_to_blocked_kernelItjLj300ELj3EEvPT_PT0_.private_seg_size, 0
	.set _Z25striped_to_blocked_kernelItjLj300ELj3EEvPT_PT0_.uses_vcc, 0
	.set _Z25striped_to_blocked_kernelItjLj300ELj3EEvPT_PT0_.uses_flat_scratch, 0
	.set _Z25striped_to_blocked_kernelItjLj300ELj3EEvPT_PT0_.has_dyn_sized_stack, 0
	.set _Z25striped_to_blocked_kernelItjLj300ELj3EEvPT_PT0_.has_recursion, 0
	.set _Z25striped_to_blocked_kernelItjLj300ELj3EEvPT_PT0_.has_indirect_call, 0
	.section	.AMDGPU.csdata,"",@progbits
; Kernel info:
; codeLenInByte = 228
; TotalNumSgprs: 8
; NumVgprs: 5
; ScratchSize: 0
; MemoryBound: 0
; FloatMode: 240
; IeeeMode: 1
; LDSByteSize: 608 bytes/workgroup (compile time only)
; SGPRBlocks: 0
; VGPRBlocks: 0
; NumSGPRsForWavesPerEU: 8
; NumVGPRsForWavesPerEU: 5
; NamedBarCnt: 0
; Occupancy: 16
; WaveLimiterHint : 0
; COMPUTE_PGM_RSRC2:SCRATCH_EN: 0
; COMPUTE_PGM_RSRC2:USER_SGPR: 2
; COMPUTE_PGM_RSRC2:TRAP_HANDLER: 0
; COMPUTE_PGM_RSRC2:TGID_X_EN: 1
; COMPUTE_PGM_RSRC2:TGID_Y_EN: 0
; COMPUTE_PGM_RSRC2:TGID_Z_EN: 0
; COMPUTE_PGM_RSRC2:TIDIG_COMP_CNT: 0
	.section	.text._Z25striped_to_blocked_kernelIc5dummyIdELj928ELj2EEvPT_PT0_,"axG",@progbits,_Z25striped_to_blocked_kernelIc5dummyIdELj928ELj2EEvPT_PT0_,comdat
	.protected	_Z25striped_to_blocked_kernelIc5dummyIdELj928ELj2EEvPT_PT0_ ; -- Begin function _Z25striped_to_blocked_kernelIc5dummyIdELj928ELj2EEvPT_PT0_
	.globl	_Z25striped_to_blocked_kernelIc5dummyIdELj928ELj2EEvPT_PT0_
	.p2align	8
	.type	_Z25striped_to_blocked_kernelIc5dummyIdELj928ELj2EEvPT_PT0_,@function
_Z25striped_to_blocked_kernelIc5dummyIdELj928ELj2EEvPT_PT0_: ; @_Z25striped_to_blocked_kernelIc5dummyIdELj928ELj2EEvPT_PT0_
; %bb.0:
	s_load_b128 s[0:3], s[0:1], 0x0
	s_bfe_u32 s4, ttmp6, 0x4000c
	s_and_b32 s5, ttmp6, 15
	s_add_co_i32 s4, s4, 1
	s_getreg_b32 s6, hwreg(HW_REG_IB_STS2, 6, 4)
	s_mul_i32 s4, ttmp9, s4
	v_add_nc_u32_e32 v2, 0x1d0, v0
	s_add_co_i32 s5, s5, s4
	s_cmp_eq_u32 s6, 0
	v_lshrrev_b32_e32 v3, 5, v0
	s_cselect_b32 s4, ttmp9, s5
	s_mov_b32 s5, 0
	s_mulk_i32 s4, 0x3a0
	v_dual_lshrrev_b32 v2, 5, v2 :: v_dual_lshrrev_b32 v4, 4, v0
	v_and_b32_e32 v3, 12, v3
	s_delay_alu instid0(VALU_DEP_2) | instskip(NEXT) | instid1(VALU_DEP_3)
	v_and_b32_e32 v2, 28, v2
	v_and_b32_e32 v4, 28, v4
	s_wait_kmcnt 0x0
	s_add_nc_u64 s[0:1], s[0:1], s[4:5]
	v_add_nc_u32_e32 v3, v3, v0
	global_load_u16 v1, v0, s[0:1] scale_offset
	v_add_nc_u32_e32 v2, v2, v0
	v_lshl_add_u32 v4, v0, 1, v4
	s_wait_xcnt 0x0
	v_lshlrev_b32_e32 v0, 5, v0
	s_lshl_b64 s[0:1], s[4:5], 4
	s_delay_alu instid0(SALU_CYCLE_1)
	s_add_nc_u64 s[0:1], s[2:3], s[0:1]
	s_wait_loadcnt 0x0
	v_lshrrev_b16 v5, 8, v1
	ds_store_b8 v3, v1
	ds_store_b8 v2, v5 offset:464
	s_wait_dscnt 0x0
	s_barrier_signal -1
	s_barrier_wait -1
	ds_load_u16 v1, v4
	s_wait_dscnt 0x0
	v_lshrrev_b16 v2, 8, v1
	v_bfe_i32 v1, v1, 0, 8
	s_delay_alu instid0(VALU_DEP_2) | instskip(NEXT) | instid1(VALU_DEP_2)
	v_bfe_i32 v2, v2, 0, 8
	v_dual_add_nc_u32 v3, 1, v1 :: v_dual_lshlrev_b32 v1, 1, v1
	s_delay_alu instid0(VALU_DEP_2) | instskip(NEXT) | instid1(VALU_DEP_2)
	v_dual_add_nc_u32 v6, 1, v2 :: v_dual_lshlrev_b32 v8, 1, v2
	v_cvt_f64_i32_e32 v[2:3], v3
	s_delay_alu instid0(VALU_DEP_3) | instskip(NEXT) | instid1(VALU_DEP_3)
	v_cvt_f64_i32_e32 v[4:5], v1
	v_cvt_f64_i32_e32 v[6:7], v6
	s_delay_alu instid0(VALU_DEP_4)
	v_cvt_f64_i32_e32 v[8:9], v8
	s_clause 0x1
	global_store_b128 v0, v[2:5], s[0:1]
	global_store_b128 v0, v[6:9], s[0:1] offset:16
	s_endpgm
	.section	.rodata,"a",@progbits
	.p2align	6, 0x0
	.amdhsa_kernel _Z25striped_to_blocked_kernelIc5dummyIdELj928ELj2EEvPT_PT0_
		.amdhsa_group_segment_fixed_size 960
		.amdhsa_private_segment_fixed_size 0
		.amdhsa_kernarg_size 16
		.amdhsa_user_sgpr_count 2
		.amdhsa_user_sgpr_dispatch_ptr 0
		.amdhsa_user_sgpr_queue_ptr 0
		.amdhsa_user_sgpr_kernarg_segment_ptr 1
		.amdhsa_user_sgpr_dispatch_id 0
		.amdhsa_user_sgpr_kernarg_preload_length 0
		.amdhsa_user_sgpr_kernarg_preload_offset 0
		.amdhsa_user_sgpr_private_segment_size 0
		.amdhsa_wavefront_size32 1
		.amdhsa_uses_dynamic_stack 0
		.amdhsa_enable_private_segment 0
		.amdhsa_system_sgpr_workgroup_id_x 1
		.amdhsa_system_sgpr_workgroup_id_y 0
		.amdhsa_system_sgpr_workgroup_id_z 0
		.amdhsa_system_sgpr_workgroup_info 0
		.amdhsa_system_vgpr_workitem_id 0
		.amdhsa_next_free_vgpr 10
		.amdhsa_next_free_sgpr 7
		.amdhsa_named_barrier_count 0
		.amdhsa_reserve_vcc 0
		.amdhsa_float_round_mode_32 0
		.amdhsa_float_round_mode_16_64 0
		.amdhsa_float_denorm_mode_32 3
		.amdhsa_float_denorm_mode_16_64 3
		.amdhsa_fp16_overflow 0
		.amdhsa_memory_ordered 1
		.amdhsa_forward_progress 1
		.amdhsa_inst_pref_size 3
		.amdhsa_round_robin_scheduling 0
		.amdhsa_exception_fp_ieee_invalid_op 0
		.amdhsa_exception_fp_denorm_src 0
		.amdhsa_exception_fp_ieee_div_zero 0
		.amdhsa_exception_fp_ieee_overflow 0
		.amdhsa_exception_fp_ieee_underflow 0
		.amdhsa_exception_fp_ieee_inexact 0
		.amdhsa_exception_int_div_zero 0
	.end_amdhsa_kernel
	.section	.text._Z25striped_to_blocked_kernelIc5dummyIdELj928ELj2EEvPT_PT0_,"axG",@progbits,_Z25striped_to_blocked_kernelIc5dummyIdELj928ELj2EEvPT_PT0_,comdat
.Lfunc_end21:
	.size	_Z25striped_to_blocked_kernelIc5dummyIdELj928ELj2EEvPT_PT0_, .Lfunc_end21-_Z25striped_to_blocked_kernelIc5dummyIdELj928ELj2EEvPT_PT0_
                                        ; -- End function
	.set _Z25striped_to_blocked_kernelIc5dummyIdELj928ELj2EEvPT_PT0_.num_vgpr, 10
	.set _Z25striped_to_blocked_kernelIc5dummyIdELj928ELj2EEvPT_PT0_.num_agpr, 0
	.set _Z25striped_to_blocked_kernelIc5dummyIdELj928ELj2EEvPT_PT0_.numbered_sgpr, 7
	.set _Z25striped_to_blocked_kernelIc5dummyIdELj928ELj2EEvPT_PT0_.num_named_barrier, 0
	.set _Z25striped_to_blocked_kernelIc5dummyIdELj928ELj2EEvPT_PT0_.private_seg_size, 0
	.set _Z25striped_to_blocked_kernelIc5dummyIdELj928ELj2EEvPT_PT0_.uses_vcc, 0
	.set _Z25striped_to_blocked_kernelIc5dummyIdELj928ELj2EEvPT_PT0_.uses_flat_scratch, 0
	.set _Z25striped_to_blocked_kernelIc5dummyIdELj928ELj2EEvPT_PT0_.has_dyn_sized_stack, 0
	.set _Z25striped_to_blocked_kernelIc5dummyIdELj928ELj2EEvPT_PT0_.has_recursion, 0
	.set _Z25striped_to_blocked_kernelIc5dummyIdELj928ELj2EEvPT_PT0_.has_indirect_call, 0
	.section	.AMDGPU.csdata,"",@progbits
; Kernel info:
; codeLenInByte = 312
; TotalNumSgprs: 7
; NumVgprs: 10
; ScratchSize: 0
; MemoryBound: 0
; FloatMode: 240
; IeeeMode: 1
; LDSByteSize: 960 bytes/workgroup (compile time only)
; SGPRBlocks: 0
; VGPRBlocks: 0
; NumSGPRsForWavesPerEU: 7
; NumVGPRsForWavesPerEU: 10
; NamedBarCnt: 0
; Occupancy: 16
; WaveLimiterHint : 0
; COMPUTE_PGM_RSRC2:SCRATCH_EN: 0
; COMPUTE_PGM_RSRC2:USER_SGPR: 2
; COMPUTE_PGM_RSRC2:TRAP_HANDLER: 0
; COMPUTE_PGM_RSRC2:TGID_X_EN: 1
; COMPUTE_PGM_RSRC2:TGID_Y_EN: 0
; COMPUTE_PGM_RSRC2:TGID_Z_EN: 0
; COMPUTE_PGM_RSRC2:TIDIG_COMP_CNT: 0
	.section	.text._Z25striped_to_blocked_kernelIfiLj165ELj5EEvPT_PT0_,"axG",@progbits,_Z25striped_to_blocked_kernelIfiLj165ELj5EEvPT_PT0_,comdat
	.protected	_Z25striped_to_blocked_kernelIfiLj165ELj5EEvPT_PT0_ ; -- Begin function _Z25striped_to_blocked_kernelIfiLj165ELj5EEvPT_PT0_
	.globl	_Z25striped_to_blocked_kernelIfiLj165ELj5EEvPT_PT0_
	.p2align	8
	.type	_Z25striped_to_blocked_kernelIfiLj165ELj5EEvPT_PT0_,@function
_Z25striped_to_blocked_kernelIfiLj165ELj5EEvPT_PT0_: ; @_Z25striped_to_blocked_kernelIfiLj165ELj5EEvPT_PT0_
; %bb.0:
	s_load_b128 s[0:3], s[0:1], 0x0
	s_bfe_u32 s4, ttmp6, 0x4000c
	s_and_b32 s5, ttmp6, 15
	s_add_co_i32 s4, s4, 1
	s_getreg_b32 s6, hwreg(HW_REG_IB_STS2, 6, 4)
	s_mul_i32 s4, ttmp9, s4
	v_mul_u32_u24_e32 v6, 5, v0
	s_add_co_i32 s5, s5, s4
	s_cmp_eq_u32 s6, 0
	v_lshlrev_b32_e32 v8, 2, v0
	s_cselect_b32 s4, ttmp9, s5
	s_mov_b32 s5, 0
	s_mulk_i32 s4, 0xa5
	v_lshlrev_b32_e32 v7, 2, v6
	s_lshl_b64 s[4:5], s[4:5], 2
	v_lshl_add_u32 v9, v0, 4, v8
	s_wait_kmcnt 0x0
	s_add_nc_u64 s[0:1], s[0:1], s[4:5]
	s_clause 0x1
	global_load_b128 v[2:5], v7, s[0:1]
	global_load_b32 v1, v6, s[0:1] offset:16 scale_offset
	s_wait_xcnt 0x0
	s_add_nc_u64 s[0:1], s[2:3], s[4:5]
	s_wait_loadcnt 0x1
	ds_store_2addr_b32 v8, v2, v3 offset1:33
	ds_store_2addr_b32 v8, v4, v5 offset0:66 offset1:99
	s_wait_loadcnt 0x0
	ds_store_b32 v8, v1 offset:528
	s_wait_dscnt 0x0
	s_barrier_signal -1
	s_barrier_wait -1
	ds_load_2addr_b32 v[0:1], v9 offset1:1
	ds_load_2addr_b32 v[2:3], v9 offset0:2 offset1:3
	ds_load_b32 v4, v9 offset:16
	s_wait_dscnt 0x2
	v_cvt_i32_f32_e32 v1, v1
	v_cvt_i32_f32_e32 v0, v0
	s_wait_dscnt 0x1
	v_cvt_i32_f32_e32 v3, v3
	v_cvt_i32_f32_e32 v2, v2
	s_wait_dscnt 0x0
	v_cvt_i32_f32_e32 v4, v4
	s_clause 0x1
	global_store_b128 v7, v[0:3], s[0:1]
	global_store_b32 v6, v4, s[0:1] offset:16 scale_offset
	s_endpgm
	.section	.rodata,"a",@progbits
	.p2align	6, 0x0
	.amdhsa_kernel _Z25striped_to_blocked_kernelIfiLj165ELj5EEvPT_PT0_
		.amdhsa_group_segment_fixed_size 672
		.amdhsa_private_segment_fixed_size 0
		.amdhsa_kernarg_size 16
		.amdhsa_user_sgpr_count 2
		.amdhsa_user_sgpr_dispatch_ptr 0
		.amdhsa_user_sgpr_queue_ptr 0
		.amdhsa_user_sgpr_kernarg_segment_ptr 1
		.amdhsa_user_sgpr_dispatch_id 0
		.amdhsa_user_sgpr_kernarg_preload_length 0
		.amdhsa_user_sgpr_kernarg_preload_offset 0
		.amdhsa_user_sgpr_private_segment_size 0
		.amdhsa_wavefront_size32 1
		.amdhsa_uses_dynamic_stack 0
		.amdhsa_enable_private_segment 0
		.amdhsa_system_sgpr_workgroup_id_x 1
		.amdhsa_system_sgpr_workgroup_id_y 0
		.amdhsa_system_sgpr_workgroup_id_z 0
		.amdhsa_system_sgpr_workgroup_info 0
		.amdhsa_system_vgpr_workitem_id 0
		.amdhsa_next_free_vgpr 10
		.amdhsa_next_free_sgpr 7
		.amdhsa_named_barrier_count 0
		.amdhsa_reserve_vcc 0
		.amdhsa_float_round_mode_32 0
		.amdhsa_float_round_mode_16_64 0
		.amdhsa_float_denorm_mode_32 3
		.amdhsa_float_denorm_mode_16_64 3
		.amdhsa_fp16_overflow 0
		.amdhsa_memory_ordered 1
		.amdhsa_forward_progress 1
		.amdhsa_inst_pref_size 2
		.amdhsa_round_robin_scheduling 0
		.amdhsa_exception_fp_ieee_invalid_op 0
		.amdhsa_exception_fp_denorm_src 0
		.amdhsa_exception_fp_ieee_div_zero 0
		.amdhsa_exception_fp_ieee_overflow 0
		.amdhsa_exception_fp_ieee_underflow 0
		.amdhsa_exception_fp_ieee_inexact 0
		.amdhsa_exception_int_div_zero 0
	.end_amdhsa_kernel
	.section	.text._Z25striped_to_blocked_kernelIfiLj165ELj5EEvPT_PT0_,"axG",@progbits,_Z25striped_to_blocked_kernelIfiLj165ELj5EEvPT_PT0_,comdat
.Lfunc_end22:
	.size	_Z25striped_to_blocked_kernelIfiLj165ELj5EEvPT_PT0_, .Lfunc_end22-_Z25striped_to_blocked_kernelIfiLj165ELj5EEvPT_PT0_
                                        ; -- End function
	.set _Z25striped_to_blocked_kernelIfiLj165ELj5EEvPT_PT0_.num_vgpr, 10
	.set _Z25striped_to_blocked_kernelIfiLj165ELj5EEvPT_PT0_.num_agpr, 0
	.set _Z25striped_to_blocked_kernelIfiLj165ELj5EEvPT_PT0_.numbered_sgpr, 7
	.set _Z25striped_to_blocked_kernelIfiLj165ELj5EEvPT_PT0_.num_named_barrier, 0
	.set _Z25striped_to_blocked_kernelIfiLj165ELj5EEvPT_PT0_.private_seg_size, 0
	.set _Z25striped_to_blocked_kernelIfiLj165ELj5EEvPT_PT0_.uses_vcc, 0
	.set _Z25striped_to_blocked_kernelIfiLj165ELj5EEvPT_PT0_.uses_flat_scratch, 0
	.set _Z25striped_to_blocked_kernelIfiLj165ELj5EEvPT_PT0_.has_dyn_sized_stack, 0
	.set _Z25striped_to_blocked_kernelIfiLj165ELj5EEvPT_PT0_.has_recursion, 0
	.set _Z25striped_to_blocked_kernelIfiLj165ELj5EEvPT_PT0_.has_indirect_call, 0
	.section	.AMDGPU.csdata,"",@progbits
; Kernel info:
; codeLenInByte = 252
; TotalNumSgprs: 7
; NumVgprs: 10
; ScratchSize: 0
; MemoryBound: 0
; FloatMode: 240
; IeeeMode: 1
; LDSByteSize: 672 bytes/workgroup (compile time only)
; SGPRBlocks: 0
; VGPRBlocks: 0
; NumSGPRsForWavesPerEU: 7
; NumVGPRsForWavesPerEU: 10
; NamedBarCnt: 0
; Occupancy: 16
; WaveLimiterHint : 0
; COMPUTE_PGM_RSRC2:SCRATCH_EN: 0
; COMPUTE_PGM_RSRC2:USER_SGPR: 2
; COMPUTE_PGM_RSRC2:TRAP_HANDLER: 0
; COMPUTE_PGM_RSRC2:TGID_X_EN: 1
; COMPUTE_PGM_RSRC2:TGID_Y_EN: 0
; COMPUTE_PGM_RSRC2:TGID_Z_EN: 0
; COMPUTE_PGM_RSRC2:TIDIG_COMP_CNT: 0
	.section	.text._Z25striped_to_blocked_kernelIidLj165ELj5EEvPT_PT0_,"axG",@progbits,_Z25striped_to_blocked_kernelIidLj165ELj5EEvPT_PT0_,comdat
	.protected	_Z25striped_to_blocked_kernelIidLj165ELj5EEvPT_PT0_ ; -- Begin function _Z25striped_to_blocked_kernelIidLj165ELj5EEvPT_PT0_
	.globl	_Z25striped_to_blocked_kernelIidLj165ELj5EEvPT_PT0_
	.p2align	8
	.type	_Z25striped_to_blocked_kernelIidLj165ELj5EEvPT_PT0_,@function
_Z25striped_to_blocked_kernelIidLj165ELj5EEvPT_PT0_: ; @_Z25striped_to_blocked_kernelIidLj165ELj5EEvPT_PT0_
; %bb.0:
	s_load_b128 s[0:3], s[0:1], 0x0
	s_bfe_u32 s4, ttmp6, 0x4000c
	s_and_b32 s5, ttmp6, 15
	s_add_co_i32 s4, s4, 1
	s_getreg_b32 s6, hwreg(HW_REG_IB_STS2, 6, 4)
	s_mul_i32 s4, ttmp9, s4
	v_mul_u32_u24_e32 v10, 5, v0
	s_add_co_i32 s5, s5, s4
	s_cmp_eq_u32 s6, 0
	s_cselect_b32 s4, ttmp9, s5
	s_mov_b32 s5, 0
	s_mulk_i32 s4, 0xa5
	v_dual_lshlrev_b32 v1, 2, v10 :: v_dual_lshlrev_b32 v11, 3, v10
	s_lshl_b64 s[6:7], s[4:5], 2
	s_wait_kmcnt 0x0
	s_add_nc_u64 s[0:1], s[0:1], s[6:7]
	s_clause 0x1
	global_load_b128 v[2:5], v1, s[0:1]
	global_load_b32 v6, v10, s[0:1] offset:16 scale_offset
	s_wait_xcnt 0x1
	v_lshlrev_b32_e32 v1, 2, v0
	s_wait_xcnt 0x0
	s_lshl_b64 s[0:1], s[4:5], 3
	s_wait_loadcnt 0x1
	ds_store_2addr_b32 v1, v2, v3 offset1:33
	ds_store_2addr_b32 v1, v4, v5 offset0:66 offset1:99
	s_wait_loadcnt 0x0
	ds_store_b32 v1, v6 offset:528
	v_lshl_add_u32 v0, v0, 4, v1
	s_wait_dscnt 0x0
	s_barrier_signal -1
	s_barrier_wait -1
	ds_load_2addr_b32 v[2:3], v0 offset1:1
	ds_load_2addr_b32 v[6:7], v0 offset0:2 offset1:3
	ds_load_b32 v8, v0 offset:16
	s_add_nc_u64 s[0:1], s[2:3], s[0:1]
	s_wait_dscnt 0x2
	v_cvt_f64_i32_e32 v[0:1], v2
	s_wait_dscnt 0x1
	v_cvt_f64_i32_e32 v[4:5], v6
	v_cvt_f64_i32_e32 v[6:7], v7
	;; [unrolled: 1-line block ×3, first 2 shown]
	s_wait_dscnt 0x0
	v_cvt_f64_i32_e32 v[8:9], v8
	s_clause 0x2
	global_store_b128 v11, v[4:7], s[0:1] offset:16
	global_store_b128 v11, v[0:3], s[0:1]
	global_store_b64 v10, v[8:9], s[0:1] offset:32 scale_offset
	s_endpgm
	.section	.rodata,"a",@progbits
	.p2align	6, 0x0
	.amdhsa_kernel _Z25striped_to_blocked_kernelIidLj165ELj5EEvPT_PT0_
		.amdhsa_group_segment_fixed_size 672
		.amdhsa_private_segment_fixed_size 0
		.amdhsa_kernarg_size 16
		.amdhsa_user_sgpr_count 2
		.amdhsa_user_sgpr_dispatch_ptr 0
		.amdhsa_user_sgpr_queue_ptr 0
		.amdhsa_user_sgpr_kernarg_segment_ptr 1
		.amdhsa_user_sgpr_dispatch_id 0
		.amdhsa_user_sgpr_kernarg_preload_length 0
		.amdhsa_user_sgpr_kernarg_preload_offset 0
		.amdhsa_user_sgpr_private_segment_size 0
		.amdhsa_wavefront_size32 1
		.amdhsa_uses_dynamic_stack 0
		.amdhsa_enable_private_segment 0
		.amdhsa_system_sgpr_workgroup_id_x 1
		.amdhsa_system_sgpr_workgroup_id_y 0
		.amdhsa_system_sgpr_workgroup_id_z 0
		.amdhsa_system_sgpr_workgroup_info 0
		.amdhsa_system_vgpr_workitem_id 0
		.amdhsa_next_free_vgpr 12
		.amdhsa_next_free_sgpr 8
		.amdhsa_named_barrier_count 0
		.amdhsa_reserve_vcc 0
		.amdhsa_float_round_mode_32 0
		.amdhsa_float_round_mode_16_64 0
		.amdhsa_float_denorm_mode_32 3
		.amdhsa_float_denorm_mode_16_64 3
		.amdhsa_fp16_overflow 0
		.amdhsa_memory_ordered 1
		.amdhsa_forward_progress 1
		.amdhsa_inst_pref_size 3
		.amdhsa_round_robin_scheduling 0
		.amdhsa_exception_fp_ieee_invalid_op 0
		.amdhsa_exception_fp_denorm_src 0
		.amdhsa_exception_fp_ieee_div_zero 0
		.amdhsa_exception_fp_ieee_overflow 0
		.amdhsa_exception_fp_ieee_underflow 0
		.amdhsa_exception_fp_ieee_inexact 0
		.amdhsa_exception_int_div_zero 0
	.end_amdhsa_kernel
	.section	.text._Z25striped_to_blocked_kernelIidLj165ELj5EEvPT_PT0_,"axG",@progbits,_Z25striped_to_blocked_kernelIidLj165ELj5EEvPT_PT0_,comdat
.Lfunc_end23:
	.size	_Z25striped_to_blocked_kernelIidLj165ELj5EEvPT_PT0_, .Lfunc_end23-_Z25striped_to_blocked_kernelIidLj165ELj5EEvPT_PT0_
                                        ; -- End function
	.set _Z25striped_to_blocked_kernelIidLj165ELj5EEvPT_PT0_.num_vgpr, 12
	.set _Z25striped_to_blocked_kernelIidLj165ELj5EEvPT_PT0_.num_agpr, 0
	.set _Z25striped_to_blocked_kernelIidLj165ELj5EEvPT_PT0_.numbered_sgpr, 8
	.set _Z25striped_to_blocked_kernelIidLj165ELj5EEvPT_PT0_.num_named_barrier, 0
	.set _Z25striped_to_blocked_kernelIidLj165ELj5EEvPT_PT0_.private_seg_size, 0
	.set _Z25striped_to_blocked_kernelIidLj165ELj5EEvPT_PT0_.uses_vcc, 0
	.set _Z25striped_to_blocked_kernelIidLj165ELj5EEvPT_PT0_.uses_flat_scratch, 0
	.set _Z25striped_to_blocked_kernelIidLj165ELj5EEvPT_PT0_.has_dyn_sized_stack, 0
	.set _Z25striped_to_blocked_kernelIidLj165ELj5EEvPT_PT0_.has_recursion, 0
	.set _Z25striped_to_blocked_kernelIidLj165ELj5EEvPT_PT0_.has_indirect_call, 0
	.section	.AMDGPU.csdata,"",@progbits
; Kernel info:
; codeLenInByte = 280
; TotalNumSgprs: 8
; NumVgprs: 12
; ScratchSize: 0
; MemoryBound: 0
; FloatMode: 240
; IeeeMode: 1
; LDSByteSize: 672 bytes/workgroup (compile time only)
; SGPRBlocks: 0
; VGPRBlocks: 0
; NumSGPRsForWavesPerEU: 8
; NumVGPRsForWavesPerEU: 12
; NamedBarCnt: 0
; Occupancy: 16
; WaveLimiterHint : 0
; COMPUTE_PGM_RSRC2:SCRATCH_EN: 0
; COMPUTE_PGM_RSRC2:USER_SGPR: 2
; COMPUTE_PGM_RSRC2:TRAP_HANDLER: 0
; COMPUTE_PGM_RSRC2:TGID_X_EN: 1
; COMPUTE_PGM_RSRC2:TGID_Y_EN: 0
; COMPUTE_PGM_RSRC2:TGID_Z_EN: 0
; COMPUTE_PGM_RSRC2:TIDIG_COMP_CNT: 0
	.section	.text._Z25striped_to_blocked_kernelIyyLj192ELj3EEvPT_PT0_,"axG",@progbits,_Z25striped_to_blocked_kernelIyyLj192ELj3EEvPT_PT0_,comdat
	.protected	_Z25striped_to_blocked_kernelIyyLj192ELj3EEvPT_PT0_ ; -- Begin function _Z25striped_to_blocked_kernelIyyLj192ELj3EEvPT_PT0_
	.globl	_Z25striped_to_blocked_kernelIyyLj192ELj3EEvPT_PT0_
	.p2align	8
	.type	_Z25striped_to_blocked_kernelIyyLj192ELj3EEvPT_PT0_,@function
_Z25striped_to_blocked_kernelIyyLj192ELj3EEvPT_PT0_: ; @_Z25striped_to_blocked_kernelIyyLj192ELj3EEvPT_PT0_
; %bb.0:
	s_load_b128 s[0:3], s[0:1], 0x0
	s_bfe_u32 s4, ttmp6, 0x4000c
	s_and_b32 s5, ttmp6, 15
	s_add_co_i32 s4, s4, 1
	s_getreg_b32 s6, hwreg(HW_REG_IB_STS2, 6, 4)
	s_mul_i32 s4, ttmp9, s4
	v_mul_u32_u24_e32 v8, 3, v0
	s_add_co_i32 s5, s5, s4
	s_cmp_eq_u32 s6, 0
	v_lshlrev_b32_e32 v1, 3, v0
	s_cselect_b32 s4, ttmp9, s5
	s_mov_b32 s5, 0
	s_mulk_i32 s4, 0xc0
	v_lshlrev_b32_e32 v9, 3, v8
	s_lshl_b64 s[4:5], s[4:5], 3
	v_lshl_add_u32 v10, v0, 4, v1
	s_wait_kmcnt 0x0
	s_add_nc_u64 s[0:1], s[0:1], s[4:5]
	s_clause 0x1
	global_load_b128 v[2:5], v9, s[0:1]
	global_load_b64 v[6:7], v8, s[0:1] offset:16 scale_offset
	s_wait_xcnt 0x0
	s_add_nc_u64 s[0:1], s[2:3], s[4:5]
	s_wait_loadcnt 0x1
	ds_store_2addr_stride64_b64 v1, v[2:3], v[4:5] offset1:1
	s_wait_loadcnt 0x0
	ds_store_b64 v1, v[6:7] offset:1024
	s_wait_dscnt 0x0
	s_barrier_signal -1
	s_barrier_wait -1
	ds_load_2addr_b64 v[0:3], v10 offset1:1
	ds_load_b64 v[4:5], v10 offset:16
	s_wait_dscnt 0x1
	global_store_b128 v9, v[0:3], s[0:1]
	s_wait_dscnt 0x0
	global_store_b64 v8, v[4:5], s[0:1] offset:16 scale_offset
	s_endpgm
	.section	.rodata,"a",@progbits
	.p2align	6, 0x0
	.amdhsa_kernel _Z25striped_to_blocked_kernelIyyLj192ELj3EEvPT_PT0_
		.amdhsa_group_segment_fixed_size 1536
		.amdhsa_private_segment_fixed_size 0
		.amdhsa_kernarg_size 16
		.amdhsa_user_sgpr_count 2
		.amdhsa_user_sgpr_dispatch_ptr 0
		.amdhsa_user_sgpr_queue_ptr 0
		.amdhsa_user_sgpr_kernarg_segment_ptr 1
		.amdhsa_user_sgpr_dispatch_id 0
		.amdhsa_user_sgpr_kernarg_preload_length 0
		.amdhsa_user_sgpr_kernarg_preload_offset 0
		.amdhsa_user_sgpr_private_segment_size 0
		.amdhsa_wavefront_size32 1
		.amdhsa_uses_dynamic_stack 0
		.amdhsa_enable_private_segment 0
		.amdhsa_system_sgpr_workgroup_id_x 1
		.amdhsa_system_sgpr_workgroup_id_y 0
		.amdhsa_system_sgpr_workgroup_id_z 0
		.amdhsa_system_sgpr_workgroup_info 0
		.amdhsa_system_vgpr_workitem_id 0
		.amdhsa_next_free_vgpr 11
		.amdhsa_next_free_sgpr 7
		.amdhsa_named_barrier_count 0
		.amdhsa_reserve_vcc 0
		.amdhsa_float_round_mode_32 0
		.amdhsa_float_round_mode_16_64 0
		.amdhsa_float_denorm_mode_32 3
		.amdhsa_float_denorm_mode_16_64 3
		.amdhsa_fp16_overflow 0
		.amdhsa_memory_ordered 1
		.amdhsa_forward_progress 1
		.amdhsa_inst_pref_size 2
		.amdhsa_round_robin_scheduling 0
		.amdhsa_exception_fp_ieee_invalid_op 0
		.amdhsa_exception_fp_denorm_src 0
		.amdhsa_exception_fp_ieee_div_zero 0
		.amdhsa_exception_fp_ieee_overflow 0
		.amdhsa_exception_fp_ieee_underflow 0
		.amdhsa_exception_fp_ieee_inexact 0
		.amdhsa_exception_int_div_zero 0
	.end_amdhsa_kernel
	.section	.text._Z25striped_to_blocked_kernelIyyLj192ELj3EEvPT_PT0_,"axG",@progbits,_Z25striped_to_blocked_kernelIyyLj192ELj3EEvPT_PT0_,comdat
.Lfunc_end24:
	.size	_Z25striped_to_blocked_kernelIyyLj192ELj3EEvPT_PT0_, .Lfunc_end24-_Z25striped_to_blocked_kernelIyyLj192ELj3EEvPT_PT0_
                                        ; -- End function
	.set _Z25striped_to_blocked_kernelIyyLj192ELj3EEvPT_PT0_.num_vgpr, 11
	.set _Z25striped_to_blocked_kernelIyyLj192ELj3EEvPT_PT0_.num_agpr, 0
	.set _Z25striped_to_blocked_kernelIyyLj192ELj3EEvPT_PT0_.numbered_sgpr, 7
	.set _Z25striped_to_blocked_kernelIyyLj192ELj3EEvPT_PT0_.num_named_barrier, 0
	.set _Z25striped_to_blocked_kernelIyyLj192ELj3EEvPT_PT0_.private_seg_size, 0
	.set _Z25striped_to_blocked_kernelIyyLj192ELj3EEvPT_PT0_.uses_vcc, 0
	.set _Z25striped_to_blocked_kernelIyyLj192ELj3EEvPT_PT0_.uses_flat_scratch, 0
	.set _Z25striped_to_blocked_kernelIyyLj192ELj3EEvPT_PT0_.has_dyn_sized_stack, 0
	.set _Z25striped_to_blocked_kernelIyyLj192ELj3EEvPT_PT0_.has_recursion, 0
	.set _Z25striped_to_blocked_kernelIyyLj192ELj3EEvPT_PT0_.has_indirect_call, 0
	.section	.AMDGPU.csdata,"",@progbits
; Kernel info:
; codeLenInByte = 208
; TotalNumSgprs: 7
; NumVgprs: 11
; ScratchSize: 0
; MemoryBound: 1
; FloatMode: 240
; IeeeMode: 1
; LDSByteSize: 1536 bytes/workgroup (compile time only)
; SGPRBlocks: 0
; VGPRBlocks: 0
; NumSGPRsForWavesPerEU: 7
; NumVGPRsForWavesPerEU: 11
; NamedBarCnt: 0
; Occupancy: 16
; WaveLimiterHint : 1
; COMPUTE_PGM_RSRC2:SCRATCH_EN: 0
; COMPUTE_PGM_RSRC2:USER_SGPR: 2
; COMPUTE_PGM_RSRC2:TRAP_HANDLER: 0
; COMPUTE_PGM_RSRC2:TGID_X_EN: 1
; COMPUTE_PGM_RSRC2:TGID_Y_EN: 0
; COMPUTE_PGM_RSRC2:TGID_Z_EN: 0
; COMPUTE_PGM_RSRC2:TIDIG_COMP_CNT: 0
	.section	.text._Z25striped_to_blocked_kernelIiiLj384ELj3EEvPT_PT0_,"axG",@progbits,_Z25striped_to_blocked_kernelIiiLj384ELj3EEvPT_PT0_,comdat
	.protected	_Z25striped_to_blocked_kernelIiiLj384ELj3EEvPT_PT0_ ; -- Begin function _Z25striped_to_blocked_kernelIiiLj384ELj3EEvPT_PT0_
	.globl	_Z25striped_to_blocked_kernelIiiLj384ELj3EEvPT_PT0_
	.p2align	8
	.type	_Z25striped_to_blocked_kernelIiiLj384ELj3EEvPT_PT0_,@function
_Z25striped_to_blocked_kernelIiiLj384ELj3EEvPT_PT0_: ; @_Z25striped_to_blocked_kernelIiiLj384ELj3EEvPT_PT0_
; %bb.0:
	s_load_b128 s[0:3], s[0:1], 0x0
	s_bfe_u32 s4, ttmp6, 0x4000c
	s_and_b32 s5, ttmp6, 15
	s_add_co_i32 s4, s4, 1
	s_getreg_b32 s6, hwreg(HW_REG_IB_STS2, 6, 4)
	s_mul_i32 s4, ttmp9, s4
	v_mul_u32_u24_e32 v1, 3, v0
	s_add_co_i32 s5, s5, s4
	s_cmp_eq_u32 s6, 0
	s_cselect_b32 s4, ttmp9, s5
	s_mov_b32 s5, 0
	s_mulk_i32 s4, 0x180
	v_dual_lshlrev_b32 v5, 2, v1 :: v_dual_lshlrev_b32 v1, 2, v0
	s_lshl_b64 s[4:5], s[4:5], 2
	s_delay_alu instid0(VALU_DEP_1)
	v_lshl_add_u32 v0, v0, 3, v1
	s_wait_kmcnt 0x0
	s_add_nc_u64 s[0:1], s[0:1], s[4:5]
	global_load_b96 v[2:4], v5, s[0:1]
	s_wait_xcnt 0x0
	s_add_nc_u64 s[0:1], s[2:3], s[4:5]
	s_wait_loadcnt 0x0
	ds_store_2addr_stride64_b32 v1, v2, v3 offset1:2
	ds_store_b32 v1, v4 offset:1024
	s_wait_dscnt 0x0
	s_barrier_signal -1
	s_barrier_wait -1
	ds_load_b32 v2, v0 offset:8
	ds_load_2addr_b32 v[0:1], v0 offset1:1
	s_wait_dscnt 0x0
	global_store_b96 v5, v[0:2], s[0:1]
	s_endpgm
	.section	.rodata,"a",@progbits
	.p2align	6, 0x0
	.amdhsa_kernel _Z25striped_to_blocked_kernelIiiLj384ELj3EEvPT_PT0_
		.amdhsa_group_segment_fixed_size 1536
		.amdhsa_private_segment_fixed_size 0
		.amdhsa_kernarg_size 16
		.amdhsa_user_sgpr_count 2
		.amdhsa_user_sgpr_dispatch_ptr 0
		.amdhsa_user_sgpr_queue_ptr 0
		.amdhsa_user_sgpr_kernarg_segment_ptr 1
		.amdhsa_user_sgpr_dispatch_id 0
		.amdhsa_user_sgpr_kernarg_preload_length 0
		.amdhsa_user_sgpr_kernarg_preload_offset 0
		.amdhsa_user_sgpr_private_segment_size 0
		.amdhsa_wavefront_size32 1
		.amdhsa_uses_dynamic_stack 0
		.amdhsa_enable_private_segment 0
		.amdhsa_system_sgpr_workgroup_id_x 1
		.amdhsa_system_sgpr_workgroup_id_y 0
		.amdhsa_system_sgpr_workgroup_id_z 0
		.amdhsa_system_sgpr_workgroup_info 0
		.amdhsa_system_vgpr_workitem_id 0
		.amdhsa_next_free_vgpr 6
		.amdhsa_next_free_sgpr 7
		.amdhsa_named_barrier_count 0
		.amdhsa_reserve_vcc 0
		.amdhsa_float_round_mode_32 0
		.amdhsa_float_round_mode_16_64 0
		.amdhsa_float_denorm_mode_32 3
		.amdhsa_float_denorm_mode_16_64 3
		.amdhsa_fp16_overflow 0
		.amdhsa_memory_ordered 1
		.amdhsa_forward_progress 1
		.amdhsa_inst_pref_size 2
		.amdhsa_round_robin_scheduling 0
		.amdhsa_exception_fp_ieee_invalid_op 0
		.amdhsa_exception_fp_denorm_src 0
		.amdhsa_exception_fp_ieee_div_zero 0
		.amdhsa_exception_fp_ieee_overflow 0
		.amdhsa_exception_fp_ieee_underflow 0
		.amdhsa_exception_fp_ieee_inexact 0
		.amdhsa_exception_int_div_zero 0
	.end_amdhsa_kernel
	.section	.text._Z25striped_to_blocked_kernelIiiLj384ELj3EEvPT_PT0_,"axG",@progbits,_Z25striped_to_blocked_kernelIiiLj384ELj3EEvPT_PT0_,comdat
.Lfunc_end25:
	.size	_Z25striped_to_blocked_kernelIiiLj384ELj3EEvPT_PT0_, .Lfunc_end25-_Z25striped_to_blocked_kernelIiiLj384ELj3EEvPT_PT0_
                                        ; -- End function
	.set _Z25striped_to_blocked_kernelIiiLj384ELj3EEvPT_PT0_.num_vgpr, 6
	.set _Z25striped_to_blocked_kernelIiiLj384ELj3EEvPT_PT0_.num_agpr, 0
	.set _Z25striped_to_blocked_kernelIiiLj384ELj3EEvPT_PT0_.numbered_sgpr, 7
	.set _Z25striped_to_blocked_kernelIiiLj384ELj3EEvPT_PT0_.num_named_barrier, 0
	.set _Z25striped_to_blocked_kernelIiiLj384ELj3EEvPT_PT0_.private_seg_size, 0
	.set _Z25striped_to_blocked_kernelIiiLj384ELj3EEvPT_PT0_.uses_vcc, 0
	.set _Z25striped_to_blocked_kernelIiiLj384ELj3EEvPT_PT0_.uses_flat_scratch, 0
	.set _Z25striped_to_blocked_kernelIiiLj384ELj3EEvPT_PT0_.has_dyn_sized_stack, 0
	.set _Z25striped_to_blocked_kernelIiiLj384ELj3EEvPT_PT0_.has_recursion, 0
	.set _Z25striped_to_blocked_kernelIiiLj384ELj3EEvPT_PT0_.has_indirect_call, 0
	.section	.AMDGPU.csdata,"",@progbits
; Kernel info:
; codeLenInByte = 180
; TotalNumSgprs: 7
; NumVgprs: 6
; ScratchSize: 0
; MemoryBound: 0
; FloatMode: 240
; IeeeMode: 1
; LDSByteSize: 1536 bytes/workgroup (compile time only)
; SGPRBlocks: 0
; VGPRBlocks: 0
; NumSGPRsForWavesPerEU: 7
; NumVGPRsForWavesPerEU: 6
; NamedBarCnt: 0
; Occupancy: 16
; WaveLimiterHint : 0
; COMPUTE_PGM_RSRC2:SCRATCH_EN: 0
; COMPUTE_PGM_RSRC2:USER_SGPR: 2
; COMPUTE_PGM_RSRC2:TRAP_HANDLER: 0
; COMPUTE_PGM_RSRC2:TGID_X_EN: 1
; COMPUTE_PGM_RSRC2:TGID_Y_EN: 0
; COMPUTE_PGM_RSRC2:TGID_Z_EN: 0
; COMPUTE_PGM_RSRC2:TIDIG_COMP_CNT: 0
	.section	.text._Z25striped_to_blocked_kernelIs5dummyIfELj896ELj7EEvPT_PT0_,"axG",@progbits,_Z25striped_to_blocked_kernelIs5dummyIfELj896ELj7EEvPT_PT0_,comdat
	.protected	_Z25striped_to_blocked_kernelIs5dummyIfELj896ELj7EEvPT_PT0_ ; -- Begin function _Z25striped_to_blocked_kernelIs5dummyIfELj896ELj7EEvPT_PT0_
	.globl	_Z25striped_to_blocked_kernelIs5dummyIfELj896ELj7EEvPT_PT0_
	.p2align	8
	.type	_Z25striped_to_blocked_kernelIs5dummyIfELj896ELj7EEvPT_PT0_,@function
_Z25striped_to_blocked_kernelIs5dummyIfELj896ELj7EEvPT_PT0_: ; @_Z25striped_to_blocked_kernelIs5dummyIfELj896ELj7EEvPT_PT0_
; %bb.0:
	s_load_b128 s[0:3], s[0:1], 0x0
	s_bfe_u32 s4, ttmp6, 0x4000c
	s_and_b32 s5, ttmp6, 15
	s_add_co_i32 s4, s4, 1
	s_getreg_b32 s6, hwreg(HW_REG_IB_STS2, 6, 4)
	s_mul_i32 s4, ttmp9, s4
	v_mul_u32_u24_e32 v14, 7, v0
	s_add_co_i32 s5, s5, s4
	s_cmp_eq_u32 s6, 0
	s_cselect_b32 s4, ttmp9, s5
	s_mov_b32 s5, 0
	s_mulk_i32 s4, 0x380
	v_dual_lshlrev_b32 v1, 1, v14 :: v_dual_lshlrev_b32 v15, 3, v14
	s_lshl_b64 s[6:7], s[4:5], 1
	s_wait_kmcnt 0x0
	s_add_nc_u64 s[0:1], s[0:1], s[6:7]
	s_clause 0x1
	global_load_b96 v[2:4], v1, s[0:1]
	global_load_u16 v5, v14, s[0:1] offset:12 scale_offset
	s_wait_xcnt 0x1
	v_lshlrev_b32_e32 v1, 1, v0
	s_wait_xcnt 0x0
	s_lshl_b64 s[0:1], s[4:5], 3
	s_wait_loadcnt 0x1
	ds_store_b16 v1, v2
	ds_store_b16_d16_hi v1, v2 offset:256
	ds_store_b16 v1, v3 offset:512
	ds_store_b16_d16_hi v1, v3 offset:768
	ds_store_b16 v1, v4 offset:1024
	ds_store_b16_d16_hi v1, v4 offset:1280
	s_wait_loadcnt 0x0
	ds_store_b16 v1, v5 offset:1536
	v_mad_u32_u24 v6, v0, 12, v1
	s_wait_dscnt 0x0
	s_barrier_signal -1
	s_barrier_wait -1
	ds_load_b96 v[0:2], v6
	ds_load_i16 v3, v6 offset:12
	s_add_nc_u64 s[0:1], s[2:3], s[0:1]
	s_wait_dscnt 0x1
	v_bfe_i32 v4, v0, 0, 16
	v_bfe_i32 v5, v1, 0, 16
	v_dual_ashrrev_i32 v1, 16, v1 :: v_dual_ashrrev_i32 v0, 16, v0
	v_bfe_i32 v6, v2, 0, 16
	s_wait_dscnt 0x0
	v_dual_ashrrev_i32 v2, 16, v2 :: v_dual_add_nc_u32 v7, 1, v3
	v_dual_lshlrev_b32 v3, 1, v3 :: v_dual_add_nc_u32 v8, 1, v4
	v_dual_lshlrev_b32 v4, 1, v4 :: v_dual_add_nc_u32 v10, 1, v5
	v_lshlrev_b32_e32 v5, 1, v5
	v_dual_add_nc_u32 v11, 1, v1 :: v_dual_lshlrev_b32 v17, 1, v1
	v_dual_add_nc_u32 v16, 1, v0 :: v_dual_lshlrev_b32 v9, 1, v0
	;; [unrolled: 1-line block ×4, first 2 shown]
	v_cvt_f32_i32_e32 v12, v7
	v_cvt_f32_i32_e32 v1, v4
	;; [unrolled: 1-line block ×14, first 2 shown]
	s_clause 0x3
	global_store_b128 v15, v[4:7], s[0:1] offset:16
	global_store_b128 v15, v[8:11], s[0:1] offset:32
	global_store_b128 v15, v[0:3], s[0:1]
	global_store_b64 v14, v[12:13], s[0:1] offset:48 scale_offset
	s_endpgm
	.section	.rodata,"a",@progbits
	.p2align	6, 0x0
	.amdhsa_kernel _Z25striped_to_blocked_kernelIs5dummyIfELj896ELj7EEvPT_PT0_
		.amdhsa_group_segment_fixed_size 1792
		.amdhsa_private_segment_fixed_size 0
		.amdhsa_kernarg_size 16
		.amdhsa_user_sgpr_count 2
		.amdhsa_user_sgpr_dispatch_ptr 0
		.amdhsa_user_sgpr_queue_ptr 0
		.amdhsa_user_sgpr_kernarg_segment_ptr 1
		.amdhsa_user_sgpr_dispatch_id 0
		.amdhsa_user_sgpr_kernarg_preload_length 0
		.amdhsa_user_sgpr_kernarg_preload_offset 0
		.amdhsa_user_sgpr_private_segment_size 0
		.amdhsa_wavefront_size32 1
		.amdhsa_uses_dynamic_stack 0
		.amdhsa_enable_private_segment 0
		.amdhsa_system_sgpr_workgroup_id_x 1
		.amdhsa_system_sgpr_workgroup_id_y 0
		.amdhsa_system_sgpr_workgroup_id_z 0
		.amdhsa_system_sgpr_workgroup_info 0
		.amdhsa_system_vgpr_workitem_id 0
		.amdhsa_next_free_vgpr 21
		.amdhsa_next_free_sgpr 8
		.amdhsa_named_barrier_count 0
		.amdhsa_reserve_vcc 0
		.amdhsa_float_round_mode_32 0
		.amdhsa_float_round_mode_16_64 0
		.amdhsa_float_denorm_mode_32 3
		.amdhsa_float_denorm_mode_16_64 3
		.amdhsa_fp16_overflow 0
		.amdhsa_memory_ordered 1
		.amdhsa_forward_progress 1
		.amdhsa_inst_pref_size 4
		.amdhsa_round_robin_scheduling 0
		.amdhsa_exception_fp_ieee_invalid_op 0
		.amdhsa_exception_fp_denorm_src 0
		.amdhsa_exception_fp_ieee_div_zero 0
		.amdhsa_exception_fp_ieee_overflow 0
		.amdhsa_exception_fp_ieee_underflow 0
		.amdhsa_exception_fp_ieee_inexact 0
		.amdhsa_exception_int_div_zero 0
	.end_amdhsa_kernel
	.section	.text._Z25striped_to_blocked_kernelIs5dummyIfELj896ELj7EEvPT_PT0_,"axG",@progbits,_Z25striped_to_blocked_kernelIs5dummyIfELj896ELj7EEvPT_PT0_,comdat
.Lfunc_end26:
	.size	_Z25striped_to_blocked_kernelIs5dummyIfELj896ELj7EEvPT_PT0_, .Lfunc_end26-_Z25striped_to_blocked_kernelIs5dummyIfELj896ELj7EEvPT_PT0_
                                        ; -- End function
	.set _Z25striped_to_blocked_kernelIs5dummyIfELj896ELj7EEvPT_PT0_.num_vgpr, 21
	.set _Z25striped_to_blocked_kernelIs5dummyIfELj896ELj7EEvPT_PT0_.num_agpr, 0
	.set _Z25striped_to_blocked_kernelIs5dummyIfELj896ELj7EEvPT_PT0_.numbered_sgpr, 8
	.set _Z25striped_to_blocked_kernelIs5dummyIfELj896ELj7EEvPT_PT0_.num_named_barrier, 0
	.set _Z25striped_to_blocked_kernelIs5dummyIfELj896ELj7EEvPT_PT0_.private_seg_size, 0
	.set _Z25striped_to_blocked_kernelIs5dummyIfELj896ELj7EEvPT_PT0_.uses_vcc, 0
	.set _Z25striped_to_blocked_kernelIs5dummyIfELj896ELj7EEvPT_PT0_.uses_flat_scratch, 0
	.set _Z25striped_to_blocked_kernelIs5dummyIfELj896ELj7EEvPT_PT0_.has_dyn_sized_stack, 0
	.set _Z25striped_to_blocked_kernelIs5dummyIfELj896ELj7EEvPT_PT0_.has_recursion, 0
	.set _Z25striped_to_blocked_kernelIs5dummyIfELj896ELj7EEvPT_PT0_.has_indirect_call, 0
	.section	.AMDGPU.csdata,"",@progbits
; Kernel info:
; codeLenInByte = 472
; TotalNumSgprs: 8
; NumVgprs: 21
; ScratchSize: 0
; MemoryBound: 0
; FloatMode: 240
; IeeeMode: 1
; LDSByteSize: 1792 bytes/workgroup (compile time only)
; SGPRBlocks: 0
; VGPRBlocks: 1
; NumSGPRsForWavesPerEU: 8
; NumVGPRsForWavesPerEU: 21
; NamedBarCnt: 0
; Occupancy: 16
; WaveLimiterHint : 0
; COMPUTE_PGM_RSRC2:SCRATCH_EN: 0
; COMPUTE_PGM_RSRC2:USER_SGPR: 2
; COMPUTE_PGM_RSRC2:TRAP_HANDLER: 0
; COMPUTE_PGM_RSRC2:TGID_X_EN: 1
; COMPUTE_PGM_RSRC2:TGID_Y_EN: 0
; COMPUTE_PGM_RSRC2:TGID_Z_EN: 0
; COMPUTE_PGM_RSRC2:TIDIG_COMP_CNT: 0
	.section	.text._Z25striped_to_blocked_kernelIiiLj2560ELj5EEvPT_PT0_,"axG",@progbits,_Z25striped_to_blocked_kernelIiiLj2560ELj5EEvPT_PT0_,comdat
	.protected	_Z25striped_to_blocked_kernelIiiLj2560ELj5EEvPT_PT0_ ; -- Begin function _Z25striped_to_blocked_kernelIiiLj2560ELj5EEvPT_PT0_
	.globl	_Z25striped_to_blocked_kernelIiiLj2560ELj5EEvPT_PT0_
	.p2align	8
	.type	_Z25striped_to_blocked_kernelIiiLj2560ELj5EEvPT_PT0_,@function
_Z25striped_to_blocked_kernelIiiLj2560ELj5EEvPT_PT0_: ; @_Z25striped_to_blocked_kernelIiiLj2560ELj5EEvPT_PT0_
; %bb.0:
	s_load_b128 s[0:3], s[0:1], 0x0
	s_bfe_u32 s4, ttmp6, 0x4000c
	s_and_b32 s5, ttmp6, 15
	s_add_co_i32 s4, s4, 1
	s_getreg_b32 s6, hwreg(HW_REG_IB_STS2, 6, 4)
	s_mul_i32 s4, ttmp9, s4
	v_mul_u32_u24_e32 v6, 5, v0
	s_add_co_i32 s5, s5, s4
	s_cmp_eq_u32 s6, 0
	v_lshlrev_b32_e32 v8, 2, v0
	s_cselect_b32 s4, ttmp9, s5
	s_mov_b32 s5, 0
	s_mulk_i32 s4, 0xa00
	v_lshlrev_b32_e32 v7, 2, v6
	s_lshl_b64 s[4:5], s[4:5], 2
	v_lshl_add_u32 v9, v0, 4, v8
	s_wait_kmcnt 0x0
	s_add_nc_u64 s[0:1], s[0:1], s[4:5]
	s_clause 0x1
	global_load_b128 v[2:5], v7, s[0:1]
	global_load_b32 v1, v6, s[0:1] offset:16 scale_offset
	s_wait_xcnt 0x0
	s_add_nc_u64 s[0:1], s[2:3], s[4:5]
	s_wait_loadcnt 0x1
	ds_store_2addr_stride64_b32 v8, v2, v3 offset1:8
	ds_store_2addr_stride64_b32 v8, v4, v5 offset0:16 offset1:24
	s_wait_loadcnt 0x0
	ds_store_b32 v8, v1 offset:8192
	s_wait_dscnt 0x0
	s_barrier_signal -1
	s_barrier_wait -1
	ds_load_2addr_b32 v[0:1], v9 offset1:1
	ds_load_2addr_b32 v[2:3], v9 offset0:2 offset1:3
	ds_load_b32 v4, v9 offset:16
	s_wait_dscnt 0x1
	global_store_b128 v7, v[0:3], s[0:1]
	s_wait_dscnt 0x0
	global_store_b32 v6, v4, s[0:1] offset:16 scale_offset
	s_endpgm
	.section	.rodata,"a",@progbits
	.p2align	6, 0x0
	.amdhsa_kernel _Z25striped_to_blocked_kernelIiiLj2560ELj5EEvPT_PT0_
		.amdhsa_group_segment_fixed_size 10240
		.amdhsa_private_segment_fixed_size 0
		.amdhsa_kernarg_size 16
		.amdhsa_user_sgpr_count 2
		.amdhsa_user_sgpr_dispatch_ptr 0
		.amdhsa_user_sgpr_queue_ptr 0
		.amdhsa_user_sgpr_kernarg_segment_ptr 1
		.amdhsa_user_sgpr_dispatch_id 0
		.amdhsa_user_sgpr_kernarg_preload_length 0
		.amdhsa_user_sgpr_kernarg_preload_offset 0
		.amdhsa_user_sgpr_private_segment_size 0
		.amdhsa_wavefront_size32 1
		.amdhsa_uses_dynamic_stack 0
		.amdhsa_enable_private_segment 0
		.amdhsa_system_sgpr_workgroup_id_x 1
		.amdhsa_system_sgpr_workgroup_id_y 0
		.amdhsa_system_sgpr_workgroup_id_z 0
		.amdhsa_system_sgpr_workgroup_info 0
		.amdhsa_system_vgpr_workitem_id 0
		.amdhsa_next_free_vgpr 10
		.amdhsa_next_free_sgpr 7
		.amdhsa_named_barrier_count 0
		.amdhsa_reserve_vcc 0
		.amdhsa_float_round_mode_32 0
		.amdhsa_float_round_mode_16_64 0
		.amdhsa_float_denorm_mode_32 3
		.amdhsa_float_denorm_mode_16_64 3
		.amdhsa_fp16_overflow 0
		.amdhsa_memory_ordered 1
		.amdhsa_forward_progress 1
		.amdhsa_inst_pref_size 2
		.amdhsa_round_robin_scheduling 0
		.amdhsa_exception_fp_ieee_invalid_op 0
		.amdhsa_exception_fp_denorm_src 0
		.amdhsa_exception_fp_ieee_div_zero 0
		.amdhsa_exception_fp_ieee_overflow 0
		.amdhsa_exception_fp_ieee_underflow 0
		.amdhsa_exception_fp_ieee_inexact 0
		.amdhsa_exception_int_div_zero 0
	.end_amdhsa_kernel
	.section	.text._Z25striped_to_blocked_kernelIiiLj2560ELj5EEvPT_PT0_,"axG",@progbits,_Z25striped_to_blocked_kernelIiiLj2560ELj5EEvPT_PT0_,comdat
.Lfunc_end27:
	.size	_Z25striped_to_blocked_kernelIiiLj2560ELj5EEvPT_PT0_, .Lfunc_end27-_Z25striped_to_blocked_kernelIiiLj2560ELj5EEvPT_PT0_
                                        ; -- End function
	.set _Z25striped_to_blocked_kernelIiiLj2560ELj5EEvPT_PT0_.num_vgpr, 10
	.set _Z25striped_to_blocked_kernelIiiLj2560ELj5EEvPT_PT0_.num_agpr, 0
	.set _Z25striped_to_blocked_kernelIiiLj2560ELj5EEvPT_PT0_.numbered_sgpr, 7
	.set _Z25striped_to_blocked_kernelIiiLj2560ELj5EEvPT_PT0_.num_named_barrier, 0
	.set _Z25striped_to_blocked_kernelIiiLj2560ELj5EEvPT_PT0_.private_seg_size, 0
	.set _Z25striped_to_blocked_kernelIiiLj2560ELj5EEvPT_PT0_.uses_vcc, 0
	.set _Z25striped_to_blocked_kernelIiiLj2560ELj5EEvPT_PT0_.uses_flat_scratch, 0
	.set _Z25striped_to_blocked_kernelIiiLj2560ELj5EEvPT_PT0_.has_dyn_sized_stack, 0
	.set _Z25striped_to_blocked_kernelIiiLj2560ELj5EEvPT_PT0_.has_recursion, 0
	.set _Z25striped_to_blocked_kernelIiiLj2560ELj5EEvPT_PT0_.has_indirect_call, 0
	.section	.AMDGPU.csdata,"",@progbits
; Kernel info:
; codeLenInByte = 224
; TotalNumSgprs: 7
; NumVgprs: 10
; ScratchSize: 0
; MemoryBound: 0
; FloatMode: 240
; IeeeMode: 1
; LDSByteSize: 10240 bytes/workgroup (compile time only)
; SGPRBlocks: 0
; VGPRBlocks: 0
; NumSGPRsForWavesPerEU: 7
; NumVGPRsForWavesPerEU: 10
; NamedBarCnt: 0
; Occupancy: 16
; WaveLimiterHint : 0
; COMPUTE_PGM_RSRC2:SCRATCH_EN: 0
; COMPUTE_PGM_RSRC2:USER_SGPR: 2
; COMPUTE_PGM_RSRC2:TRAP_HANDLER: 0
; COMPUTE_PGM_RSRC2:TGID_X_EN: 1
; COMPUTE_PGM_RSRC2:TGID_Y_EN: 0
; COMPUTE_PGM_RSRC2:TGID_Z_EN: 0
; COMPUTE_PGM_RSRC2:TIDIG_COMP_CNT: 0
	.section	.text._Z25striped_to_blocked_kernelIxxLj1024ELj4EEvPT_PT0_,"axG",@progbits,_Z25striped_to_blocked_kernelIxxLj1024ELj4EEvPT_PT0_,comdat
	.protected	_Z25striped_to_blocked_kernelIxxLj1024ELj4EEvPT_PT0_ ; -- Begin function _Z25striped_to_blocked_kernelIxxLj1024ELj4EEvPT_PT0_
	.globl	_Z25striped_to_blocked_kernelIxxLj1024ELj4EEvPT_PT0_
	.p2align	8
	.type	_Z25striped_to_blocked_kernelIxxLj1024ELj4EEvPT_PT0_,@function
_Z25striped_to_blocked_kernelIxxLj1024ELj4EEvPT_PT0_: ; @_Z25striped_to_blocked_kernelIxxLj1024ELj4EEvPT_PT0_
; %bb.0:
	s_load_b128 s[0:3], s[0:1], 0x0
	s_bfe_u32 s4, ttmp6, 0x4000c
	s_and_b32 s5, ttmp6, 15
	s_add_co_i32 s4, s4, 1
	s_getreg_b32 s6, hwreg(HW_REG_IB_STS2, 6, 4)
	s_mul_i32 s4, ttmp9, s4
	v_dual_lshlrev_b32 v10, 5, v0 :: v_dual_lshrrev_b32 v13, 2, v0
	s_add_co_i32 s5, s5, s4
	s_cmp_eq_u32 s6, 0
	v_add_nc_u32_e32 v1, 0x100, v0
	s_cselect_b32 s4, ttmp9, s5
	s_mov_b32 s5, 0
	s_lshl_b32 s4, s4, 10
	v_or_b32_e32 v11, 0x200, v0
	s_lshl_b64 s[4:5], s[4:5], 3
	v_add_nc_u32_e32 v12, 0x300, v0
	v_dual_lshrrev_b32 v1, 2, v1 :: v_dual_lshlrev_b32 v14, 3, v0
	s_delay_alu instid0(VALU_DEP_3)
	v_lshrrev_b32_e32 v11, 2, v11
	s_wait_kmcnt 0x0
	s_add_nc_u64 s[0:1], s[0:1], s[4:5]
	v_and_b32_e32 v13, 0x78, v13
	s_clause 0x1
	global_load_b128 v[2:5], v10, s[0:1]
	global_load_b128 v[6:9], v10, s[0:1] offset:16
	v_lshrrev_b32_e32 v12, 2, v12
	v_and_b32_e32 v1, 0xf8, v1
	v_and_b32_e32 v11, 0xf8, v11
	;; [unrolled: 1-line block ×3, first 2 shown]
	v_add_nc_u32_e32 v13, v13, v14
	v_and_b32_e32 v12, 0x1f8, v12
	s_delay_alu instid0(VALU_DEP_4) | instskip(SKIP_2) | instid1(VALU_DEP_2)
	v_dual_add_nc_u32 v1, v1, v14 :: v_dual_add_nc_u32 v11, v11, v14
	s_wait_xcnt 0x0
	s_add_nc_u64 s[0:1], s[2:3], s[4:5]
	v_add_nc_u32_e32 v12, v12, v14
	v_add_nc_u32_e32 v14, v0, v10
	s_wait_loadcnt 0x1
	ds_store_b64 v13, v[2:3]
	ds_store_b64 v1, v[4:5] offset:2048
	s_wait_loadcnt 0x0
	ds_store_b64 v11, v[6:7] offset:4096
	ds_store_b64 v12, v[8:9] offset:6144
	s_wait_dscnt 0x0
	s_barrier_signal -1
	s_barrier_wait -1
	ds_load_2addr_b64 v[0:3], v14 offset1:1
	ds_load_2addr_b64 v[4:7], v14 offset0:2 offset1:3
	s_wait_dscnt 0x1
	global_store_b128 v10, v[0:3], s[0:1]
	s_wait_dscnt 0x0
	global_store_b128 v10, v[4:7], s[0:1] offset:16
	s_endpgm
	.section	.rodata,"a",@progbits
	.p2align	6, 0x0
	.amdhsa_kernel _Z25striped_to_blocked_kernelIxxLj1024ELj4EEvPT_PT0_
		.amdhsa_group_segment_fixed_size 8448
		.amdhsa_private_segment_fixed_size 0
		.amdhsa_kernarg_size 16
		.amdhsa_user_sgpr_count 2
		.amdhsa_user_sgpr_dispatch_ptr 0
		.amdhsa_user_sgpr_queue_ptr 0
		.amdhsa_user_sgpr_kernarg_segment_ptr 1
		.amdhsa_user_sgpr_dispatch_id 0
		.amdhsa_user_sgpr_kernarg_preload_length 0
		.amdhsa_user_sgpr_kernarg_preload_offset 0
		.amdhsa_user_sgpr_private_segment_size 0
		.amdhsa_wavefront_size32 1
		.amdhsa_uses_dynamic_stack 0
		.amdhsa_enable_private_segment 0
		.amdhsa_system_sgpr_workgroup_id_x 1
		.amdhsa_system_sgpr_workgroup_id_y 0
		.amdhsa_system_sgpr_workgroup_id_z 0
		.amdhsa_system_sgpr_workgroup_info 0
		.amdhsa_system_vgpr_workitem_id 0
		.amdhsa_next_free_vgpr 15
		.amdhsa_next_free_sgpr 7
		.amdhsa_named_barrier_count 0
		.amdhsa_reserve_vcc 0
		.amdhsa_float_round_mode_32 0
		.amdhsa_float_round_mode_16_64 0
		.amdhsa_float_denorm_mode_32 3
		.amdhsa_float_denorm_mode_16_64 3
		.amdhsa_fp16_overflow 0
		.amdhsa_memory_ordered 1
		.amdhsa_forward_progress 1
		.amdhsa_inst_pref_size 3
		.amdhsa_round_robin_scheduling 0
		.amdhsa_exception_fp_ieee_invalid_op 0
		.amdhsa_exception_fp_denorm_src 0
		.amdhsa_exception_fp_ieee_div_zero 0
		.amdhsa_exception_fp_ieee_overflow 0
		.amdhsa_exception_fp_ieee_underflow 0
		.amdhsa_exception_fp_ieee_inexact 0
		.amdhsa_exception_int_div_zero 0
	.end_amdhsa_kernel
	.section	.text._Z25striped_to_blocked_kernelIxxLj1024ELj4EEvPT_PT0_,"axG",@progbits,_Z25striped_to_blocked_kernelIxxLj1024ELj4EEvPT_PT0_,comdat
.Lfunc_end28:
	.size	_Z25striped_to_blocked_kernelIxxLj1024ELj4EEvPT_PT0_, .Lfunc_end28-_Z25striped_to_blocked_kernelIxxLj1024ELj4EEvPT_PT0_
                                        ; -- End function
	.set _Z25striped_to_blocked_kernelIxxLj1024ELj4EEvPT_PT0_.num_vgpr, 15
	.set _Z25striped_to_blocked_kernelIxxLj1024ELj4EEvPT_PT0_.num_agpr, 0
	.set _Z25striped_to_blocked_kernelIxxLj1024ELj4EEvPT_PT0_.numbered_sgpr, 7
	.set _Z25striped_to_blocked_kernelIxxLj1024ELj4EEvPT_PT0_.num_named_barrier, 0
	.set _Z25striped_to_blocked_kernelIxxLj1024ELj4EEvPT_PT0_.private_seg_size, 0
	.set _Z25striped_to_blocked_kernelIxxLj1024ELj4EEvPT_PT0_.uses_vcc, 0
	.set _Z25striped_to_blocked_kernelIxxLj1024ELj4EEvPT_PT0_.uses_flat_scratch, 0
	.set _Z25striped_to_blocked_kernelIxxLj1024ELj4EEvPT_PT0_.has_dyn_sized_stack, 0
	.set _Z25striped_to_blocked_kernelIxxLj1024ELj4EEvPT_PT0_.has_recursion, 0
	.set _Z25striped_to_blocked_kernelIxxLj1024ELj4EEvPT_PT0_.has_indirect_call, 0
	.section	.AMDGPU.csdata,"",@progbits
; Kernel info:
; codeLenInByte = 332
; TotalNumSgprs: 7
; NumVgprs: 15
; ScratchSize: 0
; MemoryBound: 0
; FloatMode: 240
; IeeeMode: 1
; LDSByteSize: 8448 bytes/workgroup (compile time only)
; SGPRBlocks: 0
; VGPRBlocks: 0
; NumSGPRsForWavesPerEU: 7
; NumVGPRsForWavesPerEU: 15
; NamedBarCnt: 0
; Occupancy: 16
; WaveLimiterHint : 0
; COMPUTE_PGM_RSRC2:SCRATCH_EN: 0
; COMPUTE_PGM_RSRC2:USER_SGPR: 2
; COMPUTE_PGM_RSRC2:TRAP_HANDLER: 0
; COMPUTE_PGM_RSRC2:TGID_X_EN: 1
; COMPUTE_PGM_RSRC2:TGID_Y_EN: 0
; COMPUTE_PGM_RSRC2:TGID_Z_EN: 0
; COMPUTE_PGM_RSRC2:TIDIG_COMP_CNT: 0
	.section	.text._Z25striped_to_blocked_kernelIiiLj128ELj2EEvPT_PT0_,"axG",@progbits,_Z25striped_to_blocked_kernelIiiLj128ELj2EEvPT_PT0_,comdat
	.protected	_Z25striped_to_blocked_kernelIiiLj128ELj2EEvPT_PT0_ ; -- Begin function _Z25striped_to_blocked_kernelIiiLj128ELj2EEvPT_PT0_
	.globl	_Z25striped_to_blocked_kernelIiiLj128ELj2EEvPT_PT0_
	.p2align	8
	.type	_Z25striped_to_blocked_kernelIiiLj128ELj2EEvPT_PT0_,@function
_Z25striped_to_blocked_kernelIiiLj128ELj2EEvPT_PT0_: ; @_Z25striped_to_blocked_kernelIiiLj128ELj2EEvPT_PT0_
; %bb.0:
	s_load_b128 s[0:3], s[0:1], 0x0
	s_bfe_u32 s4, ttmp6, 0x4000c
	s_and_b32 s5, ttmp6, 15
	s_add_co_i32 s4, s4, 1
	s_getreg_b32 s6, hwreg(HW_REG_IB_STS2, 6, 4)
	s_mul_i32 s4, ttmp9, s4
	v_dual_add_nc_u32 v1, 64, v0 :: v_dual_lshrrev_b32 v4, 3, v0
	s_add_co_i32 s5, s5, s4
	s_cmp_eq_u32 s6, 0
	s_delay_alu instid0(VALU_DEP_1) | instskip(SKIP_3) | instid1(SALU_CYCLE_1)
	v_dual_lshlrev_b32 v5, 2, v0 :: v_dual_lshrrev_b32 v1, 3, v1
	s_cselect_b32 s4, ttmp9, s5
	s_mov_b32 s5, 0
	s_lshl_b32 s4, s4, 7
	s_lshl_b64 s[4:5], s[4:5], 2
	v_and_b32_e32 v1, 0x7c, v1
	v_and_b32_e32 v4, 60, v4
	s_wait_kmcnt 0x0
	s_add_nc_u64 s[0:1], s[0:1], s[4:5]
	s_delay_alu instid0(VALU_DEP_2)
	v_add_nc_u32_e32 v1, v1, v5
	global_load_b64 v[2:3], v0, s[0:1] scale_offset
	v_dual_lshrrev_b32 v6, 2, v0 :: v_dual_add_nc_u32 v4, v4, v5
	s_wait_xcnt 0x0
	s_add_nc_u64 s[0:1], s[2:3], s[4:5]
	s_wait_loadcnt 0x0
	ds_store_b32 v4, v2
	ds_store_b32 v1, v3 offset:256
	v_and_b32_e32 v6, 0x7c, v6
	s_wait_dscnt 0x0
	s_barrier_signal -1
	s_barrier_wait -1
	s_delay_alu instid0(VALU_DEP_1)
	v_lshl_add_u32 v5, v0, 3, v6
	ds_load_2addr_b32 v[2:3], v5 offset1:1
	s_wait_dscnt 0x0
	global_store_b64 v0, v[2:3], s[0:1] scale_offset
	s_endpgm
	.section	.rodata,"a",@progbits
	.p2align	6, 0x0
	.amdhsa_kernel _Z25striped_to_blocked_kernelIiiLj128ELj2EEvPT_PT0_
		.amdhsa_group_segment_fixed_size 528
		.amdhsa_private_segment_fixed_size 0
		.amdhsa_kernarg_size 16
		.amdhsa_user_sgpr_count 2
		.amdhsa_user_sgpr_dispatch_ptr 0
		.amdhsa_user_sgpr_queue_ptr 0
		.amdhsa_user_sgpr_kernarg_segment_ptr 1
		.amdhsa_user_sgpr_dispatch_id 0
		.amdhsa_user_sgpr_kernarg_preload_length 0
		.amdhsa_user_sgpr_kernarg_preload_offset 0
		.amdhsa_user_sgpr_private_segment_size 0
		.amdhsa_wavefront_size32 1
		.amdhsa_uses_dynamic_stack 0
		.amdhsa_enable_private_segment 0
		.amdhsa_system_sgpr_workgroup_id_x 1
		.amdhsa_system_sgpr_workgroup_id_y 0
		.amdhsa_system_sgpr_workgroup_id_z 0
		.amdhsa_system_sgpr_workgroup_info 0
		.amdhsa_system_vgpr_workitem_id 0
		.amdhsa_next_free_vgpr 7
		.amdhsa_next_free_sgpr 7
		.amdhsa_named_barrier_count 0
		.amdhsa_reserve_vcc 0
		.amdhsa_float_round_mode_32 0
		.amdhsa_float_round_mode_16_64 0
		.amdhsa_float_denorm_mode_32 3
		.amdhsa_float_denorm_mode_16_64 3
		.amdhsa_fp16_overflow 0
		.amdhsa_memory_ordered 1
		.amdhsa_forward_progress 1
		.amdhsa_inst_pref_size 2
		.amdhsa_round_robin_scheduling 0
		.amdhsa_exception_fp_ieee_invalid_op 0
		.amdhsa_exception_fp_denorm_src 0
		.amdhsa_exception_fp_ieee_div_zero 0
		.amdhsa_exception_fp_ieee_overflow 0
		.amdhsa_exception_fp_ieee_underflow 0
		.amdhsa_exception_fp_ieee_inexact 0
		.amdhsa_exception_int_div_zero 0
	.end_amdhsa_kernel
	.section	.text._Z25striped_to_blocked_kernelIiiLj128ELj2EEvPT_PT0_,"axG",@progbits,_Z25striped_to_blocked_kernelIiiLj128ELj2EEvPT_PT0_,comdat
.Lfunc_end29:
	.size	_Z25striped_to_blocked_kernelIiiLj128ELj2EEvPT_PT0_, .Lfunc_end29-_Z25striped_to_blocked_kernelIiiLj128ELj2EEvPT_PT0_
                                        ; -- End function
	.set _Z25striped_to_blocked_kernelIiiLj128ELj2EEvPT_PT0_.num_vgpr, 7
	.set _Z25striped_to_blocked_kernelIiiLj128ELj2EEvPT_PT0_.num_agpr, 0
	.set _Z25striped_to_blocked_kernelIiiLj128ELj2EEvPT_PT0_.numbered_sgpr, 7
	.set _Z25striped_to_blocked_kernelIiiLj128ELj2EEvPT_PT0_.num_named_barrier, 0
	.set _Z25striped_to_blocked_kernelIiiLj128ELj2EEvPT_PT0_.private_seg_size, 0
	.set _Z25striped_to_blocked_kernelIiiLj128ELj2EEvPT_PT0_.uses_vcc, 0
	.set _Z25striped_to_blocked_kernelIiiLj128ELj2EEvPT_PT0_.uses_flat_scratch, 0
	.set _Z25striped_to_blocked_kernelIiiLj128ELj2EEvPT_PT0_.has_dyn_sized_stack, 0
	.set _Z25striped_to_blocked_kernelIiiLj128ELj2EEvPT_PT0_.has_recursion, 0
	.set _Z25striped_to_blocked_kernelIiiLj128ELj2EEvPT_PT0_.has_indirect_call, 0
	.section	.AMDGPU.csdata,"",@progbits
; Kernel info:
; codeLenInByte = 224
; TotalNumSgprs: 7
; NumVgprs: 7
; ScratchSize: 0
; MemoryBound: 0
; FloatMode: 240
; IeeeMode: 1
; LDSByteSize: 528 bytes/workgroup (compile time only)
; SGPRBlocks: 0
; VGPRBlocks: 0
; NumSGPRsForWavesPerEU: 7
; NumVGPRsForWavesPerEU: 7
; NamedBarCnt: 0
; Occupancy: 16
; WaveLimiterHint : 0
; COMPUTE_PGM_RSRC2:SCRATCH_EN: 0
; COMPUTE_PGM_RSRC2:USER_SGPR: 2
; COMPUTE_PGM_RSRC2:TRAP_HANDLER: 0
; COMPUTE_PGM_RSRC2:TGID_X_EN: 1
; COMPUTE_PGM_RSRC2:TGID_Y_EN: 0
; COMPUTE_PGM_RSRC2:TGID_Z_EN: 0
; COMPUTE_PGM_RSRC2:TIDIG_COMP_CNT: 0
	.section	.text._Z25striped_to_blocked_kernelIxxLj512ELj1EEvPT_PT0_,"axG",@progbits,_Z25striped_to_blocked_kernelIxxLj512ELj1EEvPT_PT0_,comdat
	.protected	_Z25striped_to_blocked_kernelIxxLj512ELj1EEvPT_PT0_ ; -- Begin function _Z25striped_to_blocked_kernelIxxLj512ELj1EEvPT_PT0_
	.globl	_Z25striped_to_blocked_kernelIxxLj512ELj1EEvPT_PT0_
	.p2align	8
	.type	_Z25striped_to_blocked_kernelIxxLj512ELj1EEvPT_PT0_,@function
_Z25striped_to_blocked_kernelIxxLj512ELj1EEvPT_PT0_: ; @_Z25striped_to_blocked_kernelIxxLj512ELj1EEvPT_PT0_
; %bb.0:
	s_load_b128 s[0:3], s[0:1], 0x0
	s_bfe_u32 s4, ttmp6, 0x4000c
	s_and_b32 s5, ttmp6, 15
	s_add_co_i32 s4, s4, 1
	s_getreg_b32 s6, hwreg(HW_REG_IB_STS2, 6, 4)
	s_mul_i32 s4, ttmp9, s4
	v_lshlrev_b32_e32 v1, 3, v0
	s_add_co_i32 s5, s5, s4
	s_cmp_eq_u32 s6, 0
	s_cselect_b32 s4, ttmp9, s5
	s_mov_b32 s5, 0
	s_lshl_b32 s4, s4, 9
	s_delay_alu instid0(SALU_CYCLE_1)
	s_lshl_b64 s[4:5], s[4:5], 3
	s_wait_kmcnt 0x0
	s_add_nc_u64 s[0:1], s[0:1], s[4:5]
	global_load_b64 v[2:3], v0, s[0:1] scale_offset
	s_wait_xcnt 0x0
	s_add_nc_u64 s[0:1], s[2:3], s[4:5]
	s_wait_loadcnt 0x0
	ds_store_b64 v1, v[2:3]
	s_wait_dscnt 0x0
	s_barrier_signal -1
	s_barrier_wait -1
	ds_load_b64 v[2:3], v1
	s_wait_dscnt 0x0
	global_store_b64 v0, v[2:3], s[0:1] scale_offset
	s_endpgm
	.section	.rodata,"a",@progbits
	.p2align	6, 0x0
	.amdhsa_kernel _Z25striped_to_blocked_kernelIxxLj512ELj1EEvPT_PT0_
		.amdhsa_group_segment_fixed_size 4096
		.amdhsa_private_segment_fixed_size 0
		.amdhsa_kernarg_size 16
		.amdhsa_user_sgpr_count 2
		.amdhsa_user_sgpr_dispatch_ptr 0
		.amdhsa_user_sgpr_queue_ptr 0
		.amdhsa_user_sgpr_kernarg_segment_ptr 1
		.amdhsa_user_sgpr_dispatch_id 0
		.amdhsa_user_sgpr_kernarg_preload_length 0
		.amdhsa_user_sgpr_kernarg_preload_offset 0
		.amdhsa_user_sgpr_private_segment_size 0
		.amdhsa_wavefront_size32 1
		.amdhsa_uses_dynamic_stack 0
		.amdhsa_enable_private_segment 0
		.amdhsa_system_sgpr_workgroup_id_x 1
		.amdhsa_system_sgpr_workgroup_id_y 0
		.amdhsa_system_sgpr_workgroup_id_z 0
		.amdhsa_system_sgpr_workgroup_info 0
		.amdhsa_system_vgpr_workitem_id 0
		.amdhsa_next_free_vgpr 4
		.amdhsa_next_free_sgpr 7
		.amdhsa_named_barrier_count 0
		.amdhsa_reserve_vcc 0
		.amdhsa_float_round_mode_32 0
		.amdhsa_float_round_mode_16_64 0
		.amdhsa_float_denorm_mode_32 3
		.amdhsa_float_denorm_mode_16_64 3
		.amdhsa_fp16_overflow 0
		.amdhsa_memory_ordered 1
		.amdhsa_forward_progress 1
		.amdhsa_inst_pref_size 2
		.amdhsa_round_robin_scheduling 0
		.amdhsa_exception_fp_ieee_invalid_op 0
		.amdhsa_exception_fp_denorm_src 0
		.amdhsa_exception_fp_ieee_div_zero 0
		.amdhsa_exception_fp_ieee_overflow 0
		.amdhsa_exception_fp_ieee_underflow 0
		.amdhsa_exception_fp_ieee_inexact 0
		.amdhsa_exception_int_div_zero 0
	.end_amdhsa_kernel
	.section	.text._Z25striped_to_blocked_kernelIxxLj512ELj1EEvPT_PT0_,"axG",@progbits,_Z25striped_to_blocked_kernelIxxLj512ELj1EEvPT_PT0_,comdat
.Lfunc_end30:
	.size	_Z25striped_to_blocked_kernelIxxLj512ELj1EEvPT_PT0_, .Lfunc_end30-_Z25striped_to_blocked_kernelIxxLj512ELj1EEvPT_PT0_
                                        ; -- End function
	.set _Z25striped_to_blocked_kernelIxxLj512ELj1EEvPT_PT0_.num_vgpr, 4
	.set _Z25striped_to_blocked_kernelIxxLj512ELj1EEvPT_PT0_.num_agpr, 0
	.set _Z25striped_to_blocked_kernelIxxLj512ELj1EEvPT_PT0_.numbered_sgpr, 7
	.set _Z25striped_to_blocked_kernelIxxLj512ELj1EEvPT_PT0_.num_named_barrier, 0
	.set _Z25striped_to_blocked_kernelIxxLj512ELj1EEvPT_PT0_.private_seg_size, 0
	.set _Z25striped_to_blocked_kernelIxxLj512ELj1EEvPT_PT0_.uses_vcc, 0
	.set _Z25striped_to_blocked_kernelIxxLj512ELj1EEvPT_PT0_.uses_flat_scratch, 0
	.set _Z25striped_to_blocked_kernelIxxLj512ELj1EEvPT_PT0_.has_dyn_sized_stack, 0
	.set _Z25striped_to_blocked_kernelIxxLj512ELj1EEvPT_PT0_.has_recursion, 0
	.set _Z25striped_to_blocked_kernelIxxLj512ELj1EEvPT_PT0_.has_indirect_call, 0
	.section	.AMDGPU.csdata,"",@progbits
; Kernel info:
; codeLenInByte = 144
; TotalNumSgprs: 7
; NumVgprs: 4
; ScratchSize: 0
; MemoryBound: 0
; FloatMode: 240
; IeeeMode: 1
; LDSByteSize: 4096 bytes/workgroup (compile time only)
; SGPRBlocks: 0
; VGPRBlocks: 0
; NumSGPRsForWavesPerEU: 7
; NumVGPRsForWavesPerEU: 4
; NamedBarCnt: 0
; Occupancy: 16
; WaveLimiterHint : 0
; COMPUTE_PGM_RSRC2:SCRATCH_EN: 0
; COMPUTE_PGM_RSRC2:USER_SGPR: 2
; COMPUTE_PGM_RSRC2:TRAP_HANDLER: 0
; COMPUTE_PGM_RSRC2:TGID_X_EN: 1
; COMPUTE_PGM_RSRC2:TGID_Y_EN: 0
; COMPUTE_PGM_RSRC2:TGID_Z_EN: 0
; COMPUTE_PGM_RSRC2:TIDIG_COMP_CNT: 0
	.section	.text._Z25striped_to_blocked_kernelIs5dummyIiELj256ELj1EEvPT_PT0_,"axG",@progbits,_Z25striped_to_blocked_kernelIs5dummyIiELj256ELj1EEvPT_PT0_,comdat
	.protected	_Z25striped_to_blocked_kernelIs5dummyIiELj256ELj1EEvPT_PT0_ ; -- Begin function _Z25striped_to_blocked_kernelIs5dummyIiELj256ELj1EEvPT_PT0_
	.globl	_Z25striped_to_blocked_kernelIs5dummyIiELj256ELj1EEvPT_PT0_
	.p2align	8
	.type	_Z25striped_to_blocked_kernelIs5dummyIiELj256ELj1EEvPT_PT0_,@function
_Z25striped_to_blocked_kernelIs5dummyIiELj256ELj1EEvPT_PT0_: ; @_Z25striped_to_blocked_kernelIs5dummyIiELj256ELj1EEvPT_PT0_
; %bb.0:
	s_load_b128 s[0:3], s[0:1], 0x0
	s_bfe_u32 s4, ttmp6, 0x4000c
	s_and_b32 s5, ttmp6, 15
	s_add_co_i32 s4, s4, 1
	s_getreg_b32 s6, hwreg(HW_REG_IB_STS2, 6, 4)
	s_mul_i32 s4, ttmp9, s4
	v_lshlrev_b32_e32 v2, 1, v0
	s_add_co_i32 s5, s5, s4
	s_cmp_eq_u32 s6, 0
	s_cselect_b32 s4, ttmp9, s5
	s_mov_b32 s5, 0
	s_lshl_b32 s4, s4, 8
	s_delay_alu instid0(SALU_CYCLE_1)
	s_lshl_b64 s[6:7], s[4:5], 1
	s_wait_kmcnt 0x0
	s_add_nc_u64 s[0:1], s[0:1], s[6:7]
	global_load_u16 v1, v0, s[0:1] scale_offset
	s_wait_xcnt 0x0
	s_lshl_b64 s[0:1], s[4:5], 3
	s_delay_alu instid0(SALU_CYCLE_1)
	s_add_nc_u64 s[0:1], s[2:3], s[0:1]
	s_wait_loadcnt 0x0
	ds_store_b16 v2, v1
	s_wait_dscnt 0x0
	s_barrier_signal -1
	s_barrier_wait -1
	ds_load_i16 v1, v2
	s_wait_dscnt 0x0
	v_dual_lshlrev_b32 v3, 1, v1 :: v_dual_add_nc_u32 v2, 1, v1
	global_store_b64 v0, v[2:3], s[0:1] scale_offset
	s_endpgm
	.section	.rodata,"a",@progbits
	.p2align	6, 0x0
	.amdhsa_kernel _Z25striped_to_blocked_kernelIs5dummyIiELj256ELj1EEvPT_PT0_
		.amdhsa_group_segment_fixed_size 512
		.amdhsa_private_segment_fixed_size 0
		.amdhsa_kernarg_size 16
		.amdhsa_user_sgpr_count 2
		.amdhsa_user_sgpr_dispatch_ptr 0
		.amdhsa_user_sgpr_queue_ptr 0
		.amdhsa_user_sgpr_kernarg_segment_ptr 1
		.amdhsa_user_sgpr_dispatch_id 0
		.amdhsa_user_sgpr_kernarg_preload_length 0
		.amdhsa_user_sgpr_kernarg_preload_offset 0
		.amdhsa_user_sgpr_private_segment_size 0
		.amdhsa_wavefront_size32 1
		.amdhsa_uses_dynamic_stack 0
		.amdhsa_enable_private_segment 0
		.amdhsa_system_sgpr_workgroup_id_x 1
		.amdhsa_system_sgpr_workgroup_id_y 0
		.amdhsa_system_sgpr_workgroup_id_z 0
		.amdhsa_system_sgpr_workgroup_info 0
		.amdhsa_system_vgpr_workitem_id 0
		.amdhsa_next_free_vgpr 4
		.amdhsa_next_free_sgpr 8
		.amdhsa_named_barrier_count 0
		.amdhsa_reserve_vcc 0
		.amdhsa_float_round_mode_32 0
		.amdhsa_float_round_mode_16_64 0
		.amdhsa_float_denorm_mode_32 3
		.amdhsa_float_denorm_mode_16_64 3
		.amdhsa_fp16_overflow 0
		.amdhsa_memory_ordered 1
		.amdhsa_forward_progress 1
		.amdhsa_inst_pref_size 2
		.amdhsa_round_robin_scheduling 0
		.amdhsa_exception_fp_ieee_invalid_op 0
		.amdhsa_exception_fp_denorm_src 0
		.amdhsa_exception_fp_ieee_div_zero 0
		.amdhsa_exception_fp_ieee_overflow 0
		.amdhsa_exception_fp_ieee_underflow 0
		.amdhsa_exception_fp_ieee_inexact 0
		.amdhsa_exception_int_div_zero 0
	.end_amdhsa_kernel
	.section	.text._Z25striped_to_blocked_kernelIs5dummyIiELj256ELj1EEvPT_PT0_,"axG",@progbits,_Z25striped_to_blocked_kernelIs5dummyIiELj256ELj1EEvPT_PT0_,comdat
.Lfunc_end31:
	.size	_Z25striped_to_blocked_kernelIs5dummyIiELj256ELj1EEvPT_PT0_, .Lfunc_end31-_Z25striped_to_blocked_kernelIs5dummyIiELj256ELj1EEvPT_PT0_
                                        ; -- End function
	.set _Z25striped_to_blocked_kernelIs5dummyIiELj256ELj1EEvPT_PT0_.num_vgpr, 4
	.set _Z25striped_to_blocked_kernelIs5dummyIiELj256ELj1EEvPT_PT0_.num_agpr, 0
	.set _Z25striped_to_blocked_kernelIs5dummyIiELj256ELj1EEvPT_PT0_.numbered_sgpr, 8
	.set _Z25striped_to_blocked_kernelIs5dummyIiELj256ELj1EEvPT_PT0_.num_named_barrier, 0
	.set _Z25striped_to_blocked_kernelIs5dummyIiELj256ELj1EEvPT_PT0_.private_seg_size, 0
	.set _Z25striped_to_blocked_kernelIs5dummyIiELj256ELj1EEvPT_PT0_.uses_vcc, 0
	.set _Z25striped_to_blocked_kernelIs5dummyIiELj256ELj1EEvPT_PT0_.uses_flat_scratch, 0
	.set _Z25striped_to_blocked_kernelIs5dummyIiELj256ELj1EEvPT_PT0_.has_dyn_sized_stack, 0
	.set _Z25striped_to_blocked_kernelIs5dummyIiELj256ELj1EEvPT_PT0_.has_recursion, 0
	.set _Z25striped_to_blocked_kernelIs5dummyIiELj256ELj1EEvPT_PT0_.has_indirect_call, 0
	.section	.AMDGPU.csdata,"",@progbits
; Kernel info:
; codeLenInByte = 164
; TotalNumSgprs: 8
; NumVgprs: 4
; ScratchSize: 0
; MemoryBound: 0
; FloatMode: 240
; IeeeMode: 1
; LDSByteSize: 512 bytes/workgroup (compile time only)
; SGPRBlocks: 0
; VGPRBlocks: 0
; NumSGPRsForWavesPerEU: 8
; NumVGPRsForWavesPerEU: 4
; NamedBarCnt: 0
; Occupancy: 16
; WaveLimiterHint : 0
; COMPUTE_PGM_RSRC2:SCRATCH_EN: 0
; COMPUTE_PGM_RSRC2:USER_SGPR: 2
; COMPUTE_PGM_RSRC2:TRAP_HANDLER: 0
; COMPUTE_PGM_RSRC2:TGID_X_EN: 1
; COMPUTE_PGM_RSRC2:TGID_Y_EN: 0
; COMPUTE_PGM_RSRC2:TGID_Z_EN: 0
; COMPUTE_PGM_RSRC2:TIDIG_COMP_CNT: 0
	.section	.text._Z25striped_to_blocked_kernelIyyLj128ELj1EEvPT_PT0_,"axG",@progbits,_Z25striped_to_blocked_kernelIyyLj128ELj1EEvPT_PT0_,comdat
	.protected	_Z25striped_to_blocked_kernelIyyLj128ELj1EEvPT_PT0_ ; -- Begin function _Z25striped_to_blocked_kernelIyyLj128ELj1EEvPT_PT0_
	.globl	_Z25striped_to_blocked_kernelIyyLj128ELj1EEvPT_PT0_
	.p2align	8
	.type	_Z25striped_to_blocked_kernelIyyLj128ELj1EEvPT_PT0_,@function
_Z25striped_to_blocked_kernelIyyLj128ELj1EEvPT_PT0_: ; @_Z25striped_to_blocked_kernelIyyLj128ELj1EEvPT_PT0_
; %bb.0:
	s_load_b128 s[0:3], s[0:1], 0x0
	s_bfe_u32 s4, ttmp6, 0x4000c
	s_and_b32 s5, ttmp6, 15
	s_add_co_i32 s4, s4, 1
	s_getreg_b32 s6, hwreg(HW_REG_IB_STS2, 6, 4)
	s_mul_i32 s4, ttmp9, s4
	v_lshlrev_b32_e32 v1, 3, v0
	s_add_co_i32 s5, s5, s4
	s_cmp_eq_u32 s6, 0
	s_cselect_b32 s4, ttmp9, s5
	s_mov_b32 s5, 0
	s_lshl_b32 s4, s4, 7
	s_delay_alu instid0(SALU_CYCLE_1)
	s_lshl_b64 s[4:5], s[4:5], 3
	s_wait_kmcnt 0x0
	s_add_nc_u64 s[0:1], s[0:1], s[4:5]
	global_load_b64 v[2:3], v0, s[0:1] scale_offset
	s_wait_xcnt 0x0
	s_add_nc_u64 s[0:1], s[2:3], s[4:5]
	s_wait_loadcnt 0x0
	ds_store_b64 v1, v[2:3]
	s_wait_dscnt 0x0
	s_barrier_signal -1
	s_barrier_wait -1
	ds_load_b64 v[2:3], v1
	s_wait_dscnt 0x0
	global_store_b64 v0, v[2:3], s[0:1] scale_offset
	s_endpgm
	.section	.rodata,"a",@progbits
	.p2align	6, 0x0
	.amdhsa_kernel _Z25striped_to_blocked_kernelIyyLj128ELj1EEvPT_PT0_
		.amdhsa_group_segment_fixed_size 1024
		.amdhsa_private_segment_fixed_size 0
		.amdhsa_kernarg_size 16
		.amdhsa_user_sgpr_count 2
		.amdhsa_user_sgpr_dispatch_ptr 0
		.amdhsa_user_sgpr_queue_ptr 0
		.amdhsa_user_sgpr_kernarg_segment_ptr 1
		.amdhsa_user_sgpr_dispatch_id 0
		.amdhsa_user_sgpr_kernarg_preload_length 0
		.amdhsa_user_sgpr_kernarg_preload_offset 0
		.amdhsa_user_sgpr_private_segment_size 0
		.amdhsa_wavefront_size32 1
		.amdhsa_uses_dynamic_stack 0
		.amdhsa_enable_private_segment 0
		.amdhsa_system_sgpr_workgroup_id_x 1
		.amdhsa_system_sgpr_workgroup_id_y 0
		.amdhsa_system_sgpr_workgroup_id_z 0
		.amdhsa_system_sgpr_workgroup_info 0
		.amdhsa_system_vgpr_workitem_id 0
		.amdhsa_next_free_vgpr 4
		.amdhsa_next_free_sgpr 7
		.amdhsa_named_barrier_count 0
		.amdhsa_reserve_vcc 0
		.amdhsa_float_round_mode_32 0
		.amdhsa_float_round_mode_16_64 0
		.amdhsa_float_denorm_mode_32 3
		.amdhsa_float_denorm_mode_16_64 3
		.amdhsa_fp16_overflow 0
		.amdhsa_memory_ordered 1
		.amdhsa_forward_progress 1
		.amdhsa_inst_pref_size 2
		.amdhsa_round_robin_scheduling 0
		.amdhsa_exception_fp_ieee_invalid_op 0
		.amdhsa_exception_fp_denorm_src 0
		.amdhsa_exception_fp_ieee_div_zero 0
		.amdhsa_exception_fp_ieee_overflow 0
		.amdhsa_exception_fp_ieee_underflow 0
		.amdhsa_exception_fp_ieee_inexact 0
		.amdhsa_exception_int_div_zero 0
	.end_amdhsa_kernel
	.section	.text._Z25striped_to_blocked_kernelIyyLj128ELj1EEvPT_PT0_,"axG",@progbits,_Z25striped_to_blocked_kernelIyyLj128ELj1EEvPT_PT0_,comdat
.Lfunc_end32:
	.size	_Z25striped_to_blocked_kernelIyyLj128ELj1EEvPT_PT0_, .Lfunc_end32-_Z25striped_to_blocked_kernelIyyLj128ELj1EEvPT_PT0_
                                        ; -- End function
	.set _Z25striped_to_blocked_kernelIyyLj128ELj1EEvPT_PT0_.num_vgpr, 4
	.set _Z25striped_to_blocked_kernelIyyLj128ELj1EEvPT_PT0_.num_agpr, 0
	.set _Z25striped_to_blocked_kernelIyyLj128ELj1EEvPT_PT0_.numbered_sgpr, 7
	.set _Z25striped_to_blocked_kernelIyyLj128ELj1EEvPT_PT0_.num_named_barrier, 0
	.set _Z25striped_to_blocked_kernelIyyLj128ELj1EEvPT_PT0_.private_seg_size, 0
	.set _Z25striped_to_blocked_kernelIyyLj128ELj1EEvPT_PT0_.uses_vcc, 0
	.set _Z25striped_to_blocked_kernelIyyLj128ELj1EEvPT_PT0_.uses_flat_scratch, 0
	.set _Z25striped_to_blocked_kernelIyyLj128ELj1EEvPT_PT0_.has_dyn_sized_stack, 0
	.set _Z25striped_to_blocked_kernelIyyLj128ELj1EEvPT_PT0_.has_recursion, 0
	.set _Z25striped_to_blocked_kernelIyyLj128ELj1EEvPT_PT0_.has_indirect_call, 0
	.section	.AMDGPU.csdata,"",@progbits
; Kernel info:
; codeLenInByte = 144
; TotalNumSgprs: 7
; NumVgprs: 4
; ScratchSize: 0
; MemoryBound: 0
; FloatMode: 240
; IeeeMode: 1
; LDSByteSize: 1024 bytes/workgroup (compile time only)
; SGPRBlocks: 0
; VGPRBlocks: 0
; NumSGPRsForWavesPerEU: 7
; NumVGPRsForWavesPerEU: 4
; NamedBarCnt: 0
; Occupancy: 16
; WaveLimiterHint : 0
; COMPUTE_PGM_RSRC2:SCRATCH_EN: 0
; COMPUTE_PGM_RSRC2:USER_SGPR: 2
; COMPUTE_PGM_RSRC2:TRAP_HANDLER: 0
; COMPUTE_PGM_RSRC2:TGID_X_EN: 1
; COMPUTE_PGM_RSRC2:TGID_Y_EN: 0
; COMPUTE_PGM_RSRC2:TGID_Z_EN: 0
; COMPUTE_PGM_RSRC2:TIDIG_COMP_CNT: 0
	.section	.text._Z25striped_to_blocked_kernelIixLj64ELj1EEvPT_PT0_,"axG",@progbits,_Z25striped_to_blocked_kernelIixLj64ELj1EEvPT_PT0_,comdat
	.protected	_Z25striped_to_blocked_kernelIixLj64ELj1EEvPT_PT0_ ; -- Begin function _Z25striped_to_blocked_kernelIixLj64ELj1EEvPT_PT0_
	.globl	_Z25striped_to_blocked_kernelIixLj64ELj1EEvPT_PT0_
	.p2align	8
	.type	_Z25striped_to_blocked_kernelIixLj64ELj1EEvPT_PT0_,@function
_Z25striped_to_blocked_kernelIixLj64ELj1EEvPT_PT0_: ; @_Z25striped_to_blocked_kernelIixLj64ELj1EEvPT_PT0_
; %bb.0:
	s_load_b128 s[0:3], s[0:1], 0x0
	s_bfe_u32 s4, ttmp6, 0x4000c
	s_and_b32 s5, ttmp6, 15
	s_add_co_i32 s4, s4, 1
	s_getreg_b32 s6, hwreg(HW_REG_IB_STS2, 6, 4)
	s_mul_i32 s4, ttmp9, s4
	v_lshlrev_b32_e32 v2, 2, v0
	s_add_co_i32 s5, s5, s4
	s_cmp_eq_u32 s6, 0
	s_cselect_b32 s4, ttmp9, s5
	s_mov_b32 s5, 0
	s_lshl_b32 s4, s4, 6
	s_delay_alu instid0(SALU_CYCLE_1)
	s_lshl_b64 s[6:7], s[4:5], 2
	s_wait_kmcnt 0x0
	s_add_nc_u64 s[0:1], s[0:1], s[6:7]
	global_load_b32 v1, v0, s[0:1] scale_offset
	s_wait_xcnt 0x0
	s_lshl_b64 s[0:1], s[4:5], 3
	s_delay_alu instid0(SALU_CYCLE_1)
	s_add_nc_u64 s[0:1], s[2:3], s[0:1]
	s_wait_loadcnt 0x0
	ds_store_b32 v2, v1
	s_wait_dscnt 0x0
	s_barrier_signal -1
	s_barrier_wait -1
	ds_load_b32 v2, v2
	s_wait_dscnt 0x0
	v_ashrrev_i32_e32 v3, 31, v2
	global_store_b64 v0, v[2:3], s[0:1] scale_offset
	s_endpgm
	.section	.rodata,"a",@progbits
	.p2align	6, 0x0
	.amdhsa_kernel _Z25striped_to_blocked_kernelIixLj64ELj1EEvPT_PT0_
		.amdhsa_group_segment_fixed_size 256
		.amdhsa_private_segment_fixed_size 0
		.amdhsa_kernarg_size 16
		.amdhsa_user_sgpr_count 2
		.amdhsa_user_sgpr_dispatch_ptr 0
		.amdhsa_user_sgpr_queue_ptr 0
		.amdhsa_user_sgpr_kernarg_segment_ptr 1
		.amdhsa_user_sgpr_dispatch_id 0
		.amdhsa_user_sgpr_kernarg_preload_length 0
		.amdhsa_user_sgpr_kernarg_preload_offset 0
		.amdhsa_user_sgpr_private_segment_size 0
		.amdhsa_wavefront_size32 1
		.amdhsa_uses_dynamic_stack 0
		.amdhsa_enable_private_segment 0
		.amdhsa_system_sgpr_workgroup_id_x 1
		.amdhsa_system_sgpr_workgroup_id_y 0
		.amdhsa_system_sgpr_workgroup_id_z 0
		.amdhsa_system_sgpr_workgroup_info 0
		.amdhsa_system_vgpr_workitem_id 0
		.amdhsa_next_free_vgpr 4
		.amdhsa_next_free_sgpr 8
		.amdhsa_named_barrier_count 0
		.amdhsa_reserve_vcc 0
		.amdhsa_float_round_mode_32 0
		.amdhsa_float_round_mode_16_64 0
		.amdhsa_float_denorm_mode_32 3
		.amdhsa_float_denorm_mode_16_64 3
		.amdhsa_fp16_overflow 0
		.amdhsa_memory_ordered 1
		.amdhsa_forward_progress 1
		.amdhsa_inst_pref_size 2
		.amdhsa_round_robin_scheduling 0
		.amdhsa_exception_fp_ieee_invalid_op 0
		.amdhsa_exception_fp_denorm_src 0
		.amdhsa_exception_fp_ieee_div_zero 0
		.amdhsa_exception_fp_ieee_overflow 0
		.amdhsa_exception_fp_ieee_underflow 0
		.amdhsa_exception_fp_ieee_inexact 0
		.amdhsa_exception_int_div_zero 0
	.end_amdhsa_kernel
	.section	.text._Z25striped_to_blocked_kernelIixLj64ELj1EEvPT_PT0_,"axG",@progbits,_Z25striped_to_blocked_kernelIixLj64ELj1EEvPT_PT0_,comdat
.Lfunc_end33:
	.size	_Z25striped_to_blocked_kernelIixLj64ELj1EEvPT_PT0_, .Lfunc_end33-_Z25striped_to_blocked_kernelIixLj64ELj1EEvPT_PT0_
                                        ; -- End function
	.set _Z25striped_to_blocked_kernelIixLj64ELj1EEvPT_PT0_.num_vgpr, 4
	.set _Z25striped_to_blocked_kernelIixLj64ELj1EEvPT_PT0_.num_agpr, 0
	.set _Z25striped_to_blocked_kernelIixLj64ELj1EEvPT_PT0_.numbered_sgpr, 8
	.set _Z25striped_to_blocked_kernelIixLj64ELj1EEvPT_PT0_.num_named_barrier, 0
	.set _Z25striped_to_blocked_kernelIixLj64ELj1EEvPT_PT0_.private_seg_size, 0
	.set _Z25striped_to_blocked_kernelIixLj64ELj1EEvPT_PT0_.uses_vcc, 0
	.set _Z25striped_to_blocked_kernelIixLj64ELj1EEvPT_PT0_.uses_flat_scratch, 0
	.set _Z25striped_to_blocked_kernelIixLj64ELj1EEvPT_PT0_.has_dyn_sized_stack, 0
	.set _Z25striped_to_blocked_kernelIixLj64ELj1EEvPT_PT0_.has_recursion, 0
	.set _Z25striped_to_blocked_kernelIixLj64ELj1EEvPT_PT0_.has_indirect_call, 0
	.section	.AMDGPU.csdata,"",@progbits
; Kernel info:
; codeLenInByte = 156
; TotalNumSgprs: 8
; NumVgprs: 4
; ScratchSize: 0
; MemoryBound: 0
; FloatMode: 240
; IeeeMode: 1
; LDSByteSize: 256 bytes/workgroup (compile time only)
; SGPRBlocks: 0
; VGPRBlocks: 0
; NumSGPRsForWavesPerEU: 8
; NumVGPRsForWavesPerEU: 4
; NamedBarCnt: 0
; Occupancy: 16
; WaveLimiterHint : 0
; COMPUTE_PGM_RSRC2:SCRATCH_EN: 0
; COMPUTE_PGM_RSRC2:USER_SGPR: 2
; COMPUTE_PGM_RSRC2:TRAP_HANDLER: 0
; COMPUTE_PGM_RSRC2:TGID_X_EN: 1
; COMPUTE_PGM_RSRC2:TGID_Y_EN: 0
; COMPUTE_PGM_RSRC2:TGID_Z_EN: 0
; COMPUTE_PGM_RSRC2:TIDIG_COMP_CNT: 0
	.section	.text._Z25striped_to_blocked_kernelI6__halfS0_Lj512ELj4EEvPT_PT0_,"axG",@progbits,_Z25striped_to_blocked_kernelI6__halfS0_Lj512ELj4EEvPT_PT0_,comdat
	.protected	_Z25striped_to_blocked_kernelI6__halfS0_Lj512ELj4EEvPT_PT0_ ; -- Begin function _Z25striped_to_blocked_kernelI6__halfS0_Lj512ELj4EEvPT_PT0_
	.globl	_Z25striped_to_blocked_kernelI6__halfS0_Lj512ELj4EEvPT_PT0_
	.p2align	8
	.type	_Z25striped_to_blocked_kernelI6__halfS0_Lj512ELj4EEvPT_PT0_,@function
_Z25striped_to_blocked_kernelI6__halfS0_Lj512ELj4EEvPT_PT0_: ; @_Z25striped_to_blocked_kernelI6__halfS0_Lj512ELj4EEvPT_PT0_
; %bb.0:
	s_load_b128 s[0:3], s[0:1], 0x0
	s_bfe_u32 s4, ttmp6, 0x4000c
	s_and_b32 s5, ttmp6, 15
	s_add_co_i32 s4, s4, 1
	s_getreg_b32 s6, hwreg(HW_REG_IB_STS2, 6, 4)
	s_mul_i32 s4, ttmp9, s4
	v_add_nc_u32_e32 v1, 0x80, v0
	s_add_co_i32 s5, s5, s4
	s_cmp_eq_u32 s6, 0
	v_add_nc_u32_e32 v4, 0x100, v0
	s_cselect_b32 s4, ttmp9, s5
	s_mov_b32 s5, 0
	s_lshl_b32 s4, s4, 9
	v_add_nc_u32_e32 v5, 0x180, v0
	s_lshl_b64 s[4:5], s[4:5], 1
	v_dual_lshrrev_b32 v6, 4, v0 :: v_dual_lshlrev_b32 v7, 1, v0
	v_dual_lshrrev_b32 v1, 4, v1 :: v_dual_lshrrev_b32 v4, 4, v4
	s_delay_alu instid0(VALU_DEP_3) | instskip(SKIP_2) | instid1(VALU_DEP_2)
	v_dual_lshrrev_b32 v5, 4, v5 :: v_dual_lshrrev_b32 v8, 2, v0
	s_wait_kmcnt 0x0
	s_add_nc_u64 s[0:1], s[0:1], s[4:5]
	v_and_b32_e32 v1, 60, v1
	global_load_b64 v[2:3], v0, s[0:1] scale_offset
	v_and_b32_e32 v6, 28, v6
	v_and_b32_e32 v5, 60, v5
	;; [unrolled: 1-line block ×4, first 2 shown]
	s_delay_alu instid0(VALU_DEP_4) | instskip(NEXT) | instid1(VALU_DEP_3)
	v_dual_add_nc_u32 v1, v1, v7 :: v_dual_add_nc_u32 v6, v6, v7
	v_dual_add_nc_u32 v5, v5, v7 :: v_dual_add_nc_u32 v4, v4, v7
	s_delay_alu instid0(VALU_DEP_3)
	v_lshl_add_u32 v7, v0, 3, v8
	s_wait_xcnt 0x0
	s_add_nc_u64 s[0:1], s[2:3], s[4:5]
	s_wait_loadcnt 0x0
	ds_store_b16 v6, v2
	ds_store_b16_d16_hi v1, v2 offset:256
	ds_store_b16 v4, v3 offset:512
	ds_store_b16_d16_hi v5, v3 offset:768
	s_wait_dscnt 0x0
	s_barrier_signal -1
	s_barrier_wait -1
	ds_load_2addr_b32 v[2:3], v7 offset1:1
	s_wait_dscnt 0x0
	global_store_b64 v0, v[2:3], s[0:1] scale_offset
	s_endpgm
	.section	.rodata,"a",@progbits
	.p2align	6, 0x0
	.amdhsa_kernel _Z25striped_to_blocked_kernelI6__halfS0_Lj512ELj4EEvPT_PT0_
		.amdhsa_group_segment_fixed_size 1056
		.amdhsa_private_segment_fixed_size 0
		.amdhsa_kernarg_size 16
		.amdhsa_user_sgpr_count 2
		.amdhsa_user_sgpr_dispatch_ptr 0
		.amdhsa_user_sgpr_queue_ptr 0
		.amdhsa_user_sgpr_kernarg_segment_ptr 1
		.amdhsa_user_sgpr_dispatch_id 0
		.amdhsa_user_sgpr_kernarg_preload_length 0
		.amdhsa_user_sgpr_kernarg_preload_offset 0
		.amdhsa_user_sgpr_private_segment_size 0
		.amdhsa_wavefront_size32 1
		.amdhsa_uses_dynamic_stack 0
		.amdhsa_enable_private_segment 0
		.amdhsa_system_sgpr_workgroup_id_x 1
		.amdhsa_system_sgpr_workgroup_id_y 0
		.amdhsa_system_sgpr_workgroup_id_z 0
		.amdhsa_system_sgpr_workgroup_info 0
		.amdhsa_system_vgpr_workitem_id 0
		.amdhsa_next_free_vgpr 9
		.amdhsa_next_free_sgpr 7
		.amdhsa_named_barrier_count 0
		.amdhsa_reserve_vcc 0
		.amdhsa_float_round_mode_32 0
		.amdhsa_float_round_mode_16_64 0
		.amdhsa_float_denorm_mode_32 3
		.amdhsa_float_denorm_mode_16_64 3
		.amdhsa_fp16_overflow 0
		.amdhsa_memory_ordered 1
		.amdhsa_forward_progress 1
		.amdhsa_inst_pref_size 3
		.amdhsa_round_robin_scheduling 0
		.amdhsa_exception_fp_ieee_invalid_op 0
		.amdhsa_exception_fp_denorm_src 0
		.amdhsa_exception_fp_ieee_div_zero 0
		.amdhsa_exception_fp_ieee_overflow 0
		.amdhsa_exception_fp_ieee_underflow 0
		.amdhsa_exception_fp_ieee_inexact 0
		.amdhsa_exception_int_div_zero 0
	.end_amdhsa_kernel
	.section	.text._Z25striped_to_blocked_kernelI6__halfS0_Lj512ELj4EEvPT_PT0_,"axG",@progbits,_Z25striped_to_blocked_kernelI6__halfS0_Lj512ELj4EEvPT_PT0_,comdat
.Lfunc_end34:
	.size	_Z25striped_to_blocked_kernelI6__halfS0_Lj512ELj4EEvPT_PT0_, .Lfunc_end34-_Z25striped_to_blocked_kernelI6__halfS0_Lj512ELj4EEvPT_PT0_
                                        ; -- End function
	.set _Z25striped_to_blocked_kernelI6__halfS0_Lj512ELj4EEvPT_PT0_.num_vgpr, 9
	.set _Z25striped_to_blocked_kernelI6__halfS0_Lj512ELj4EEvPT_PT0_.num_agpr, 0
	.set _Z25striped_to_blocked_kernelI6__halfS0_Lj512ELj4EEvPT_PT0_.numbered_sgpr, 7
	.set _Z25striped_to_blocked_kernelI6__halfS0_Lj512ELj4EEvPT_PT0_.num_named_barrier, 0
	.set _Z25striped_to_blocked_kernelI6__halfS0_Lj512ELj4EEvPT_PT0_.private_seg_size, 0
	.set _Z25striped_to_blocked_kernelI6__halfS0_Lj512ELj4EEvPT_PT0_.uses_vcc, 0
	.set _Z25striped_to_blocked_kernelI6__halfS0_Lj512ELj4EEvPT_PT0_.uses_flat_scratch, 0
	.set _Z25striped_to_blocked_kernelI6__halfS0_Lj512ELj4EEvPT_PT0_.has_dyn_sized_stack, 0
	.set _Z25striped_to_blocked_kernelI6__halfS0_Lj512ELj4EEvPT_PT0_.has_recursion, 0
	.set _Z25striped_to_blocked_kernelI6__halfS0_Lj512ELj4EEvPT_PT0_.has_indirect_call, 0
	.section	.AMDGPU.csdata,"",@progbits
; Kernel info:
; codeLenInByte = 288
; TotalNumSgprs: 7
; NumVgprs: 9
; ScratchSize: 0
; MemoryBound: 0
; FloatMode: 240
; IeeeMode: 1
; LDSByteSize: 1056 bytes/workgroup (compile time only)
; SGPRBlocks: 0
; VGPRBlocks: 0
; NumSGPRsForWavesPerEU: 7
; NumVGPRsForWavesPerEU: 9
; NamedBarCnt: 0
; Occupancy: 16
; WaveLimiterHint : 0
; COMPUTE_PGM_RSRC2:SCRATCH_EN: 0
; COMPUTE_PGM_RSRC2:USER_SGPR: 2
; COMPUTE_PGM_RSRC2:TRAP_HANDLER: 0
; COMPUTE_PGM_RSRC2:TGID_X_EN: 1
; COMPUTE_PGM_RSRC2:TGID_Y_EN: 0
; COMPUTE_PGM_RSRC2:TGID_Z_EN: 0
; COMPUTE_PGM_RSRC2:TIDIG_COMP_CNT: 0
	.section	.text._Z25striped_to_blocked_kernelI12hip_bfloat16S0_Lj512ELj4EEvPT_PT0_,"axG",@progbits,_Z25striped_to_blocked_kernelI12hip_bfloat16S0_Lj512ELj4EEvPT_PT0_,comdat
	.protected	_Z25striped_to_blocked_kernelI12hip_bfloat16S0_Lj512ELj4EEvPT_PT0_ ; -- Begin function _Z25striped_to_blocked_kernelI12hip_bfloat16S0_Lj512ELj4EEvPT_PT0_
	.globl	_Z25striped_to_blocked_kernelI12hip_bfloat16S0_Lj512ELj4EEvPT_PT0_
	.p2align	8
	.type	_Z25striped_to_blocked_kernelI12hip_bfloat16S0_Lj512ELj4EEvPT_PT0_,@function
_Z25striped_to_blocked_kernelI12hip_bfloat16S0_Lj512ELj4EEvPT_PT0_: ; @_Z25striped_to_blocked_kernelI12hip_bfloat16S0_Lj512ELj4EEvPT_PT0_
; %bb.0:
	s_load_b128 s[0:3], s[0:1], 0x0
	s_bfe_u32 s4, ttmp6, 0x4000c
	s_and_b32 s5, ttmp6, 15
	s_add_co_i32 s4, s4, 1
	s_getreg_b32 s6, hwreg(HW_REG_IB_STS2, 6, 4)
	s_mul_i32 s4, ttmp9, s4
	v_add_nc_u32_e32 v1, 0x80, v0
	s_add_co_i32 s5, s5, s4
	s_cmp_eq_u32 s6, 0
	v_add_nc_u32_e32 v4, 0x100, v0
	s_cselect_b32 s4, ttmp9, s5
	s_mov_b32 s5, 0
	s_lshl_b32 s4, s4, 9
	v_add_nc_u32_e32 v5, 0x180, v0
	s_lshl_b64 s[4:5], s[4:5], 1
	v_dual_lshrrev_b32 v6, 4, v0 :: v_dual_lshlrev_b32 v7, 1, v0
	v_dual_lshrrev_b32 v1, 4, v1 :: v_dual_lshrrev_b32 v4, 4, v4
	s_delay_alu instid0(VALU_DEP_3) | instskip(SKIP_2) | instid1(VALU_DEP_2)
	v_dual_lshrrev_b32 v5, 4, v5 :: v_dual_lshrrev_b32 v8, 2, v0
	s_wait_kmcnt 0x0
	s_add_nc_u64 s[0:1], s[0:1], s[4:5]
	v_and_b32_e32 v1, 60, v1
	global_load_b64 v[2:3], v0, s[0:1] scale_offset
	v_and_b32_e32 v6, 28, v6
	v_and_b32_e32 v5, 60, v5
	;; [unrolled: 1-line block ×4, first 2 shown]
	s_delay_alu instid0(VALU_DEP_4) | instskip(NEXT) | instid1(VALU_DEP_3)
	v_dual_add_nc_u32 v1, v1, v7 :: v_dual_add_nc_u32 v6, v6, v7
	v_dual_add_nc_u32 v5, v5, v7 :: v_dual_add_nc_u32 v4, v4, v7
	s_delay_alu instid0(VALU_DEP_3)
	v_lshl_add_u32 v7, v0, 3, v8
	s_wait_xcnt 0x0
	s_add_nc_u64 s[0:1], s[2:3], s[4:5]
	s_wait_loadcnt 0x0
	ds_store_b16 v6, v2
	ds_store_b16_d16_hi v1, v2 offset:256
	ds_store_b16 v4, v3 offset:512
	ds_store_b16_d16_hi v5, v3 offset:768
	s_wait_dscnt 0x0
	s_barrier_signal -1
	s_barrier_wait -1
	ds_load_2addr_b32 v[2:3], v7 offset1:1
	s_wait_dscnt 0x0
	global_store_b64 v0, v[2:3], s[0:1] scale_offset
	s_endpgm
	.section	.rodata,"a",@progbits
	.p2align	6, 0x0
	.amdhsa_kernel _Z25striped_to_blocked_kernelI12hip_bfloat16S0_Lj512ELj4EEvPT_PT0_
		.amdhsa_group_segment_fixed_size 1056
		.amdhsa_private_segment_fixed_size 0
		.amdhsa_kernarg_size 16
		.amdhsa_user_sgpr_count 2
		.amdhsa_user_sgpr_dispatch_ptr 0
		.amdhsa_user_sgpr_queue_ptr 0
		.amdhsa_user_sgpr_kernarg_segment_ptr 1
		.amdhsa_user_sgpr_dispatch_id 0
		.amdhsa_user_sgpr_kernarg_preload_length 0
		.amdhsa_user_sgpr_kernarg_preload_offset 0
		.amdhsa_user_sgpr_private_segment_size 0
		.amdhsa_wavefront_size32 1
		.amdhsa_uses_dynamic_stack 0
		.amdhsa_enable_private_segment 0
		.amdhsa_system_sgpr_workgroup_id_x 1
		.amdhsa_system_sgpr_workgroup_id_y 0
		.amdhsa_system_sgpr_workgroup_id_z 0
		.amdhsa_system_sgpr_workgroup_info 0
		.amdhsa_system_vgpr_workitem_id 0
		.amdhsa_next_free_vgpr 9
		.amdhsa_next_free_sgpr 7
		.amdhsa_named_barrier_count 0
		.amdhsa_reserve_vcc 0
		.amdhsa_float_round_mode_32 0
		.amdhsa_float_round_mode_16_64 0
		.amdhsa_float_denorm_mode_32 3
		.amdhsa_float_denorm_mode_16_64 3
		.amdhsa_fp16_overflow 0
		.amdhsa_memory_ordered 1
		.amdhsa_forward_progress 1
		.amdhsa_inst_pref_size 3
		.amdhsa_round_robin_scheduling 0
		.amdhsa_exception_fp_ieee_invalid_op 0
		.amdhsa_exception_fp_denorm_src 0
		.amdhsa_exception_fp_ieee_div_zero 0
		.amdhsa_exception_fp_ieee_overflow 0
		.amdhsa_exception_fp_ieee_underflow 0
		.amdhsa_exception_fp_ieee_inexact 0
		.amdhsa_exception_int_div_zero 0
	.end_amdhsa_kernel
	.section	.text._Z25striped_to_blocked_kernelI12hip_bfloat16S0_Lj512ELj4EEvPT_PT0_,"axG",@progbits,_Z25striped_to_blocked_kernelI12hip_bfloat16S0_Lj512ELj4EEvPT_PT0_,comdat
.Lfunc_end35:
	.size	_Z25striped_to_blocked_kernelI12hip_bfloat16S0_Lj512ELj4EEvPT_PT0_, .Lfunc_end35-_Z25striped_to_blocked_kernelI12hip_bfloat16S0_Lj512ELj4EEvPT_PT0_
                                        ; -- End function
	.set _Z25striped_to_blocked_kernelI12hip_bfloat16S0_Lj512ELj4EEvPT_PT0_.num_vgpr, 9
	.set _Z25striped_to_blocked_kernelI12hip_bfloat16S0_Lj512ELj4EEvPT_PT0_.num_agpr, 0
	.set _Z25striped_to_blocked_kernelI12hip_bfloat16S0_Lj512ELj4EEvPT_PT0_.numbered_sgpr, 7
	.set _Z25striped_to_blocked_kernelI12hip_bfloat16S0_Lj512ELj4EEvPT_PT0_.num_named_barrier, 0
	.set _Z25striped_to_blocked_kernelI12hip_bfloat16S0_Lj512ELj4EEvPT_PT0_.private_seg_size, 0
	.set _Z25striped_to_blocked_kernelI12hip_bfloat16S0_Lj512ELj4EEvPT_PT0_.uses_vcc, 0
	.set _Z25striped_to_blocked_kernelI12hip_bfloat16S0_Lj512ELj4EEvPT_PT0_.uses_flat_scratch, 0
	.set _Z25striped_to_blocked_kernelI12hip_bfloat16S0_Lj512ELj4EEvPT_PT0_.has_dyn_sized_stack, 0
	.set _Z25striped_to_blocked_kernelI12hip_bfloat16S0_Lj512ELj4EEvPT_PT0_.has_recursion, 0
	.set _Z25striped_to_blocked_kernelI12hip_bfloat16S0_Lj512ELj4EEvPT_PT0_.has_indirect_call, 0
	.section	.AMDGPU.csdata,"",@progbits
; Kernel info:
; codeLenInByte = 288
; TotalNumSgprs: 7
; NumVgprs: 9
; ScratchSize: 0
; MemoryBound: 0
; FloatMode: 240
; IeeeMode: 1
; LDSByteSize: 1056 bytes/workgroup (compile time only)
; SGPRBlocks: 0
; VGPRBlocks: 0
; NumSGPRsForWavesPerEU: 7
; NumVGPRsForWavesPerEU: 9
; NamedBarCnt: 0
; Occupancy: 16
; WaveLimiterHint : 0
; COMPUTE_PGM_RSRC2:SCRATCH_EN: 0
; COMPUTE_PGM_RSRC2:USER_SGPR: 2
; COMPUTE_PGM_RSRC2:TRAP_HANDLER: 0
; COMPUTE_PGM_RSRC2:TGID_X_EN: 1
; COMPUTE_PGM_RSRC2:TGID_Y_EN: 0
; COMPUTE_PGM_RSRC2:TGID_Z_EN: 0
; COMPUTE_PGM_RSRC2:TIDIG_COMP_CNT: 0
	.section	.text._Z25striped_to_blocked_kernelIfdLj512ELj4EEvPT_PT0_,"axG",@progbits,_Z25striped_to_blocked_kernelIfdLj512ELj4EEvPT_PT0_,comdat
	.protected	_Z25striped_to_blocked_kernelIfdLj512ELj4EEvPT_PT0_ ; -- Begin function _Z25striped_to_blocked_kernelIfdLj512ELj4EEvPT_PT0_
	.globl	_Z25striped_to_blocked_kernelIfdLj512ELj4EEvPT_PT0_
	.p2align	8
	.type	_Z25striped_to_blocked_kernelIfdLj512ELj4EEvPT_PT0_,@function
_Z25striped_to_blocked_kernelIfdLj512ELj4EEvPT_PT0_: ; @_Z25striped_to_blocked_kernelIfdLj512ELj4EEvPT_PT0_
; %bb.0:
	s_load_b128 s[0:3], s[0:1], 0x0
	s_bfe_u32 s4, ttmp6, 0x4000c
	s_and_b32 s5, ttmp6, 15
	s_add_co_i32 s4, s4, 1
	s_getreg_b32 s6, hwreg(HW_REG_IB_STS2, 6, 4)
	s_mul_i32 s4, ttmp9, s4
	v_add_nc_u32_e32 v1, 0x80, v0
	s_add_co_i32 s5, s5, s4
	s_cmp_eq_u32 s6, 0
	v_add_nc_u32_e32 v6, 0x100, v0
	s_cselect_b32 s4, ttmp9, s5
	s_mov_b32 s5, 0
	s_lshl_b32 s4, s4, 9
	v_add_nc_u32_e32 v7, 0x180, v0
	s_lshl_b64 s[6:7], s[4:5], 2
	v_dual_lshlrev_b32 v8, 2, v0 :: v_dual_lshrrev_b32 v9, 3, v0
	v_dual_lshrrev_b32 v1, 3, v1 :: v_dual_lshrrev_b32 v6, 3, v6
	s_delay_alu instid0(VALU_DEP_3) | instskip(SKIP_2) | instid1(VALU_DEP_2)
	v_dual_lshrrev_b32 v7, 3, v7 :: v_dual_lshrrev_b32 v10, 1, v0
	s_wait_kmcnt 0x0
	s_add_nc_u64 s[0:1], s[0:1], s[6:7]
	v_and_b32_e32 v1, 0x7c, v1
	global_load_b128 v[2:5], v0, s[0:1] scale_offset
	v_and_b32_e32 v9, 60, v9
	v_and_b32_e32 v6, 0x7c, v6
	;; [unrolled: 1-line block ×4, first 2 shown]
	v_add_nc_u32_e32 v1, v1, v8
	s_delay_alu instid0(VALU_DEP_4) | instskip(NEXT) | instid1(VALU_DEP_4)
	v_dual_add_nc_u32 v9, v9, v8 :: v_dual_add_nc_u32 v6, v6, v8
	v_add_nc_u32_e32 v7, v7, v8
	s_delay_alu instid0(VALU_DEP_4)
	v_lshl_add_u32 v8, v0, 4, v10
	s_wait_xcnt 0x0
	v_lshlrev_b32_e32 v0, 5, v0
	s_lshl_b64 s[0:1], s[4:5], 3
	s_wait_loadcnt 0x0
	ds_store_b32 v9, v2
	ds_store_b32 v1, v3 offset:512
	ds_store_b32 v6, v4 offset:1024
	;; [unrolled: 1-line block ×3, first 2 shown]
	s_wait_dscnt 0x0
	s_barrier_signal -1
	s_barrier_wait -1
	ds_load_2addr_b32 v[4:5], v8 offset1:1
	ds_load_2addr_b32 v[8:9], v8 offset0:2 offset1:3
	s_add_nc_u64 s[0:1], s[2:3], s[0:1]
	s_wait_dscnt 0x1
	v_cvt_f64_f32_e32 v[2:3], v4
	v_cvt_f64_f32_e32 v[4:5], v5
	s_wait_dscnt 0x0
	v_cvt_f64_f32_e32 v[6:7], v8
	v_cvt_f64_f32_e32 v[8:9], v9
	s_clause 0x1
	global_store_b128 v0, v[2:5], s[0:1]
	global_store_b128 v0, v[6:9], s[0:1] offset:16
	s_endpgm
	.section	.rodata,"a",@progbits
	.p2align	6, 0x0
	.amdhsa_kernel _Z25striped_to_blocked_kernelIfdLj512ELj4EEvPT_PT0_
		.amdhsa_group_segment_fixed_size 2112
		.amdhsa_private_segment_fixed_size 0
		.amdhsa_kernarg_size 16
		.amdhsa_user_sgpr_count 2
		.amdhsa_user_sgpr_dispatch_ptr 0
		.amdhsa_user_sgpr_queue_ptr 0
		.amdhsa_user_sgpr_kernarg_segment_ptr 1
		.amdhsa_user_sgpr_dispatch_id 0
		.amdhsa_user_sgpr_kernarg_preload_length 0
		.amdhsa_user_sgpr_kernarg_preload_offset 0
		.amdhsa_user_sgpr_private_segment_size 0
		.amdhsa_wavefront_size32 1
		.amdhsa_uses_dynamic_stack 0
		.amdhsa_enable_private_segment 0
		.amdhsa_system_sgpr_workgroup_id_x 1
		.amdhsa_system_sgpr_workgroup_id_y 0
		.amdhsa_system_sgpr_workgroup_id_z 0
		.amdhsa_system_sgpr_workgroup_info 0
		.amdhsa_system_vgpr_workitem_id 0
		.amdhsa_next_free_vgpr 11
		.amdhsa_next_free_sgpr 8
		.amdhsa_named_barrier_count 0
		.amdhsa_reserve_vcc 0
		.amdhsa_float_round_mode_32 0
		.amdhsa_float_round_mode_16_64 0
		.amdhsa_float_denorm_mode_32 3
		.amdhsa_float_denorm_mode_16_64 3
		.amdhsa_fp16_overflow 0
		.amdhsa_memory_ordered 1
		.amdhsa_forward_progress 1
		.amdhsa_inst_pref_size 3
		.amdhsa_round_robin_scheduling 0
		.amdhsa_exception_fp_ieee_invalid_op 0
		.amdhsa_exception_fp_denorm_src 0
		.amdhsa_exception_fp_ieee_div_zero 0
		.amdhsa_exception_fp_ieee_overflow 0
		.amdhsa_exception_fp_ieee_underflow 0
		.amdhsa_exception_fp_ieee_inexact 0
		.amdhsa_exception_int_div_zero 0
	.end_amdhsa_kernel
	.section	.text._Z25striped_to_blocked_kernelIfdLj512ELj4EEvPT_PT0_,"axG",@progbits,_Z25striped_to_blocked_kernelIfdLj512ELj4EEvPT_PT0_,comdat
.Lfunc_end36:
	.size	_Z25striped_to_blocked_kernelIfdLj512ELj4EEvPT_PT0_, .Lfunc_end36-_Z25striped_to_blocked_kernelIfdLj512ELj4EEvPT_PT0_
                                        ; -- End function
	.set _Z25striped_to_blocked_kernelIfdLj512ELj4EEvPT_PT0_.num_vgpr, 11
	.set _Z25striped_to_blocked_kernelIfdLj512ELj4EEvPT_PT0_.num_agpr, 0
	.set _Z25striped_to_blocked_kernelIfdLj512ELj4EEvPT_PT0_.numbered_sgpr, 8
	.set _Z25striped_to_blocked_kernelIfdLj512ELj4EEvPT_PT0_.num_named_barrier, 0
	.set _Z25striped_to_blocked_kernelIfdLj512ELj4EEvPT_PT0_.private_seg_size, 0
	.set _Z25striped_to_blocked_kernelIfdLj512ELj4EEvPT_PT0_.uses_vcc, 0
	.set _Z25striped_to_blocked_kernelIfdLj512ELj4EEvPT_PT0_.uses_flat_scratch, 0
	.set _Z25striped_to_blocked_kernelIfdLj512ELj4EEvPT_PT0_.has_dyn_sized_stack, 0
	.set _Z25striped_to_blocked_kernelIfdLj512ELj4EEvPT_PT0_.has_recursion, 0
	.set _Z25striped_to_blocked_kernelIfdLj512ELj4EEvPT_PT0_.has_indirect_call, 0
	.section	.AMDGPU.csdata,"",@progbits
; Kernel info:
; codeLenInByte = 348
; TotalNumSgprs: 8
; NumVgprs: 11
; ScratchSize: 0
; MemoryBound: 0
; FloatMode: 240
; IeeeMode: 1
; LDSByteSize: 2112 bytes/workgroup (compile time only)
; SGPRBlocks: 0
; VGPRBlocks: 0
; NumSGPRsForWavesPerEU: 8
; NumVGPRsForWavesPerEU: 11
; NamedBarCnt: 0
; Occupancy: 16
; WaveLimiterHint : 0
; COMPUTE_PGM_RSRC2:SCRATCH_EN: 0
; COMPUTE_PGM_RSRC2:USER_SGPR: 2
; COMPUTE_PGM_RSRC2:TRAP_HANDLER: 0
; COMPUTE_PGM_RSRC2:TGID_X_EN: 1
; COMPUTE_PGM_RSRC2:TGID_Y_EN: 0
; COMPUTE_PGM_RSRC2:TGID_Z_EN: 0
; COMPUTE_PGM_RSRC2:TIDIG_COMP_CNT: 0
	.section	.text._Z25striped_to_blocked_kernelIiiLj512ELj4EEvPT_PT0_,"axG",@progbits,_Z25striped_to_blocked_kernelIiiLj512ELj4EEvPT_PT0_,comdat
	.protected	_Z25striped_to_blocked_kernelIiiLj512ELj4EEvPT_PT0_ ; -- Begin function _Z25striped_to_blocked_kernelIiiLj512ELj4EEvPT_PT0_
	.globl	_Z25striped_to_blocked_kernelIiiLj512ELj4EEvPT_PT0_
	.p2align	8
	.type	_Z25striped_to_blocked_kernelIiiLj512ELj4EEvPT_PT0_,@function
_Z25striped_to_blocked_kernelIiiLj512ELj4EEvPT_PT0_: ; @_Z25striped_to_blocked_kernelIiiLj512ELj4EEvPT_PT0_
; %bb.0:
	s_load_b128 s[0:3], s[0:1], 0x0
	s_bfe_u32 s4, ttmp6, 0x4000c
	s_and_b32 s5, ttmp6, 15
	s_add_co_i32 s4, s4, 1
	s_getreg_b32 s6, hwreg(HW_REG_IB_STS2, 6, 4)
	s_mul_i32 s4, ttmp9, s4
	v_add_nc_u32_e32 v1, 0x80, v0
	s_add_co_i32 s5, s5, s4
	s_cmp_eq_u32 s6, 0
	v_add_nc_u32_e32 v6, 0x100, v0
	s_cselect_b32 s4, ttmp9, s5
	s_mov_b32 s5, 0
	s_lshl_b32 s4, s4, 9
	v_add_nc_u32_e32 v7, 0x180, v0
	s_lshl_b64 s[4:5], s[4:5], 2
	v_dual_lshlrev_b32 v8, 2, v0 :: v_dual_lshrrev_b32 v9, 3, v0
	v_dual_lshrrev_b32 v1, 3, v1 :: v_dual_lshrrev_b32 v6, 3, v6
	s_delay_alu instid0(VALU_DEP_3) | instskip(SKIP_2) | instid1(VALU_DEP_2)
	v_dual_lshrrev_b32 v7, 3, v7 :: v_dual_lshrrev_b32 v10, 1, v0
	s_wait_kmcnt 0x0
	s_add_nc_u64 s[0:1], s[0:1], s[4:5]
	v_and_b32_e32 v1, 0x7c, v1
	global_load_b128 v[2:5], v0, s[0:1] scale_offset
	v_and_b32_e32 v9, 60, v9
	v_and_b32_e32 v6, 0x7c, v6
	;; [unrolled: 1-line block ×4, first 2 shown]
	v_add_nc_u32_e32 v1, v1, v8
	s_delay_alu instid0(VALU_DEP_4) | instskip(NEXT) | instid1(VALU_DEP_4)
	v_dual_add_nc_u32 v9, v9, v8 :: v_dual_add_nc_u32 v6, v6, v8
	v_add_nc_u32_e32 v7, v7, v8
	s_delay_alu instid0(VALU_DEP_4)
	v_lshl_add_u32 v8, v0, 4, v10
	s_wait_xcnt 0x0
	s_add_nc_u64 s[0:1], s[2:3], s[4:5]
	s_wait_loadcnt 0x0
	ds_store_b32 v9, v2
	ds_store_b32 v1, v3 offset:512
	ds_store_b32 v6, v4 offset:1024
	;; [unrolled: 1-line block ×3, first 2 shown]
	s_wait_dscnt 0x0
	s_barrier_signal -1
	s_barrier_wait -1
	ds_load_2addr_b32 v[2:3], v8 offset1:1
	ds_load_2addr_b32 v[4:5], v8 offset0:2 offset1:3
	s_wait_dscnt 0x0
	global_store_b128 v0, v[2:5], s[0:1] scale_offset
	s_endpgm
	.section	.rodata,"a",@progbits
	.p2align	6, 0x0
	.amdhsa_kernel _Z25striped_to_blocked_kernelIiiLj512ELj4EEvPT_PT0_
		.amdhsa_group_segment_fixed_size 2112
		.amdhsa_private_segment_fixed_size 0
		.amdhsa_kernarg_size 16
		.amdhsa_user_sgpr_count 2
		.amdhsa_user_sgpr_dispatch_ptr 0
		.amdhsa_user_sgpr_queue_ptr 0
		.amdhsa_user_sgpr_kernarg_segment_ptr 1
		.amdhsa_user_sgpr_dispatch_id 0
		.amdhsa_user_sgpr_kernarg_preload_length 0
		.amdhsa_user_sgpr_kernarg_preload_offset 0
		.amdhsa_user_sgpr_private_segment_size 0
		.amdhsa_wavefront_size32 1
		.amdhsa_uses_dynamic_stack 0
		.amdhsa_enable_private_segment 0
		.amdhsa_system_sgpr_workgroup_id_x 1
		.amdhsa_system_sgpr_workgroup_id_y 0
		.amdhsa_system_sgpr_workgroup_id_z 0
		.amdhsa_system_sgpr_workgroup_info 0
		.amdhsa_system_vgpr_workitem_id 0
		.amdhsa_next_free_vgpr 11
		.amdhsa_next_free_sgpr 7
		.amdhsa_named_barrier_count 0
		.amdhsa_reserve_vcc 0
		.amdhsa_float_round_mode_32 0
		.amdhsa_float_round_mode_16_64 0
		.amdhsa_float_denorm_mode_32 3
		.amdhsa_float_denorm_mode_16_64 3
		.amdhsa_fp16_overflow 0
		.amdhsa_memory_ordered 1
		.amdhsa_forward_progress 1
		.amdhsa_inst_pref_size 3
		.amdhsa_round_robin_scheduling 0
		.amdhsa_exception_fp_ieee_invalid_op 0
		.amdhsa_exception_fp_denorm_src 0
		.amdhsa_exception_fp_ieee_div_zero 0
		.amdhsa_exception_fp_ieee_overflow 0
		.amdhsa_exception_fp_ieee_underflow 0
		.amdhsa_exception_fp_ieee_inexact 0
		.amdhsa_exception_int_div_zero 0
	.end_amdhsa_kernel
	.section	.text._Z25striped_to_blocked_kernelIiiLj512ELj4EEvPT_PT0_,"axG",@progbits,_Z25striped_to_blocked_kernelIiiLj512ELj4EEvPT_PT0_,comdat
.Lfunc_end37:
	.size	_Z25striped_to_blocked_kernelIiiLj512ELj4EEvPT_PT0_, .Lfunc_end37-_Z25striped_to_blocked_kernelIiiLj512ELj4EEvPT_PT0_
                                        ; -- End function
	.set _Z25striped_to_blocked_kernelIiiLj512ELj4EEvPT_PT0_.num_vgpr, 11
	.set _Z25striped_to_blocked_kernelIiiLj512ELj4EEvPT_PT0_.num_agpr, 0
	.set _Z25striped_to_blocked_kernelIiiLj512ELj4EEvPT_PT0_.numbered_sgpr, 7
	.set _Z25striped_to_blocked_kernelIiiLj512ELj4EEvPT_PT0_.num_named_barrier, 0
	.set _Z25striped_to_blocked_kernelIiiLj512ELj4EEvPT_PT0_.private_seg_size, 0
	.set _Z25striped_to_blocked_kernelIiiLj512ELj4EEvPT_PT0_.uses_vcc, 0
	.set _Z25striped_to_blocked_kernelIiiLj512ELj4EEvPT_PT0_.uses_flat_scratch, 0
	.set _Z25striped_to_blocked_kernelIiiLj512ELj4EEvPT_PT0_.has_dyn_sized_stack, 0
	.set _Z25striped_to_blocked_kernelIiiLj512ELj4EEvPT_PT0_.has_recursion, 0
	.set _Z25striped_to_blocked_kernelIiiLj512ELj4EEvPT_PT0_.has_indirect_call, 0
	.section	.AMDGPU.csdata,"",@progbits
; Kernel info:
; codeLenInByte = 304
; TotalNumSgprs: 7
; NumVgprs: 11
; ScratchSize: 0
; MemoryBound: 0
; FloatMode: 240
; IeeeMode: 1
; LDSByteSize: 2112 bytes/workgroup (compile time only)
; SGPRBlocks: 0
; VGPRBlocks: 0
; NumSGPRsForWavesPerEU: 7
; NumVGPRsForWavesPerEU: 11
; NamedBarCnt: 0
; Occupancy: 16
; WaveLimiterHint : 0
; COMPUTE_PGM_RSRC2:SCRATCH_EN: 0
; COMPUTE_PGM_RSRC2:USER_SGPR: 2
; COMPUTE_PGM_RSRC2:TRAP_HANDLER: 0
; COMPUTE_PGM_RSRC2:TGID_X_EN: 1
; COMPUTE_PGM_RSRC2:TGID_Y_EN: 0
; COMPUTE_PGM_RSRC2:TGID_Z_EN: 0
; COMPUTE_PGM_RSRC2:TIDIG_COMP_CNT: 0
	.section	.text._Z30blocked_to_warp_striped_kernelIsiLj2106ELj9EEvPT_PT0_,"axG",@progbits,_Z30blocked_to_warp_striped_kernelIsiLj2106ELj9EEvPT_PT0_,comdat
	.protected	_Z30blocked_to_warp_striped_kernelIsiLj2106ELj9EEvPT_PT0_ ; -- Begin function _Z30blocked_to_warp_striped_kernelIsiLj2106ELj9EEvPT_PT0_
	.globl	_Z30blocked_to_warp_striped_kernelIsiLj2106ELj9EEvPT_PT0_
	.p2align	8
	.type	_Z30blocked_to_warp_striped_kernelIsiLj2106ELj9EEvPT_PT0_,@function
_Z30blocked_to_warp_striped_kernelIsiLj2106ELj9EEvPT_PT0_: ; @_Z30blocked_to_warp_striped_kernelIsiLj2106ELj9EEvPT_PT0_
; %bb.0:
	s_load_b128 s[0:3], s[0:1], 0x0
	s_bfe_u32 s4, ttmp6, 0x4000c
	s_and_b32 s5, ttmp6, 15
	s_add_co_i32 s4, s4, 1
	s_getreg_b32 s6, hwreg(HW_REG_IB_STS2, 6, 4)
	s_mul_i32 s4, ttmp9, s4
	v_mul_u32_u24_e32 v8, 9, v0
	s_add_co_i32 s5, s5, s4
	s_cmp_eq_u32 s6, 0
	v_mbcnt_lo_u32_b32 v7, -1, 0
	s_cselect_b32 s4, ttmp9, s5
	s_mov_b32 s5, 0
	s_mulk_i32 s4, 0x83a
	v_lshlrev_b32_e32 v1, 1, v8
	s_lshl_b64 s[6:7], s[4:5], 1
	s_wait_kmcnt 0x0
	s_add_nc_u64 s[0:1], s[0:1], s[6:7]
	s_clause 0x1
	global_load_b128 v[2:5], v1, s[0:1]
	global_load_u16 v6, v8, s[0:1] offset:16 scale_offset
	s_wait_xcnt 0x1
	v_lshrrev_b32_e32 v1, 6, v0
	v_and_b32_e32 v0, 0x1c0, v0
	s_wait_xcnt 0x0
	s_lshl_b64 s[0:1], s[4:5], 2
	s_delay_alu instid0(SALU_CYCLE_1) | instskip(SKIP_2) | instid1(VALU_DEP_2)
	s_add_nc_u64 s[0:1], s[2:3], s[0:1]
	v_mul_u32_u24_e32 v1, 0x240, v1
	v_cmp_eq_u32_e32 vcc_lo, 0xc0, v0
	v_or_b32_e32 v9, v7, v1
	v_mul_u32_u24_e32 v7, 9, v7
	v_cndmask_b32_e64 v0, 64, 42, vcc_lo
	s_delay_alu instid0(VALU_DEP_3) | instskip(NEXT) | instid1(VALU_DEP_3)
	v_lshlrev_b32_e32 v9, 1, v9
	v_add_lshl_u32 v1, v7, v1, 1
	s_wait_loadcnt 0x1
	ds_store_b128 v1, v[2:5]
	s_wait_loadcnt 0x0
	ds_store_b16 v1, v6 offset:16
	v_lshl_add_u32 v7, v0, 1, v9
	v_lshl_add_u32 v10, v0, 2, v9
	;; [unrolled: 1-line block ×3, first 2 shown]
	v_mad_u32_u24 v13, v0, 10, v9
	v_mad_u32_u24 v11, v0, 6, v9
	;; [unrolled: 1-line block ×4, first 2 shown]
	v_lshl_add_u32 v16, v0, 4, v9
	; wave barrier
	ds_load_i16 v0, v9
	ds_load_i16 v1, v7
	;; [unrolled: 1-line block ×9, first 2 shown]
	v_lshlrev_b32_e32 v10, 2, v8
	s_wait_dscnt 0x2
	global_store_b128 v10, v[4:7], s[0:1] offset:16
	s_wait_dscnt 0x1
	global_store_b128 v10, v[0:3], s[0:1]
	s_wait_dscnt 0x0
	global_store_b32 v8, v9, s[0:1] offset:32 scale_offset
	s_endpgm
	.section	.rodata,"a",@progbits
	.p2align	6, 0x0
	.amdhsa_kernel _Z30blocked_to_warp_striped_kernelIsiLj2106ELj9EEvPT_PT0_
		.amdhsa_group_segment_fixed_size 4224
		.amdhsa_private_segment_fixed_size 0
		.amdhsa_kernarg_size 16
		.amdhsa_user_sgpr_count 2
		.amdhsa_user_sgpr_dispatch_ptr 0
		.amdhsa_user_sgpr_queue_ptr 0
		.amdhsa_user_sgpr_kernarg_segment_ptr 1
		.amdhsa_user_sgpr_dispatch_id 0
		.amdhsa_user_sgpr_kernarg_preload_length 0
		.amdhsa_user_sgpr_kernarg_preload_offset 0
		.amdhsa_user_sgpr_private_segment_size 0
		.amdhsa_wavefront_size32 1
		.amdhsa_uses_dynamic_stack 0
		.amdhsa_enable_private_segment 0
		.amdhsa_system_sgpr_workgroup_id_x 1
		.amdhsa_system_sgpr_workgroup_id_y 0
		.amdhsa_system_sgpr_workgroup_id_z 0
		.amdhsa_system_sgpr_workgroup_info 0
		.amdhsa_system_vgpr_workitem_id 0
		.amdhsa_next_free_vgpr 17
		.amdhsa_next_free_sgpr 8
		.amdhsa_named_barrier_count 0
		.amdhsa_reserve_vcc 1
		.amdhsa_float_round_mode_32 0
		.amdhsa_float_round_mode_16_64 0
		.amdhsa_float_denorm_mode_32 3
		.amdhsa_float_denorm_mode_16_64 3
		.amdhsa_fp16_overflow 0
		.amdhsa_memory_ordered 1
		.amdhsa_forward_progress 1
		.amdhsa_inst_pref_size 4
		.amdhsa_round_robin_scheduling 0
		.amdhsa_exception_fp_ieee_invalid_op 0
		.amdhsa_exception_fp_denorm_src 0
		.amdhsa_exception_fp_ieee_div_zero 0
		.amdhsa_exception_fp_ieee_overflow 0
		.amdhsa_exception_fp_ieee_underflow 0
		.amdhsa_exception_fp_ieee_inexact 0
		.amdhsa_exception_int_div_zero 0
	.end_amdhsa_kernel
	.section	.text._Z30blocked_to_warp_striped_kernelIsiLj2106ELj9EEvPT_PT0_,"axG",@progbits,_Z30blocked_to_warp_striped_kernelIsiLj2106ELj9EEvPT_PT0_,comdat
.Lfunc_end38:
	.size	_Z30blocked_to_warp_striped_kernelIsiLj2106ELj9EEvPT_PT0_, .Lfunc_end38-_Z30blocked_to_warp_striped_kernelIsiLj2106ELj9EEvPT_PT0_
                                        ; -- End function
	.set _Z30blocked_to_warp_striped_kernelIsiLj2106ELj9EEvPT_PT0_.num_vgpr, 17
	.set _Z30blocked_to_warp_striped_kernelIsiLj2106ELj9EEvPT_PT0_.num_agpr, 0
	.set _Z30blocked_to_warp_striped_kernelIsiLj2106ELj9EEvPT_PT0_.numbered_sgpr, 8
	.set _Z30blocked_to_warp_striped_kernelIsiLj2106ELj9EEvPT_PT0_.num_named_barrier, 0
	.set _Z30blocked_to_warp_striped_kernelIsiLj2106ELj9EEvPT_PT0_.private_seg_size, 0
	.set _Z30blocked_to_warp_striped_kernelIsiLj2106ELj9EEvPT_PT0_.uses_vcc, 1
	.set _Z30blocked_to_warp_striped_kernelIsiLj2106ELj9EEvPT_PT0_.uses_flat_scratch, 0
	.set _Z30blocked_to_warp_striped_kernelIsiLj2106ELj9EEvPT_PT0_.has_dyn_sized_stack, 0
	.set _Z30blocked_to_warp_striped_kernelIsiLj2106ELj9EEvPT_PT0_.has_recursion, 0
	.set _Z30blocked_to_warp_striped_kernelIsiLj2106ELj9EEvPT_PT0_.has_indirect_call, 0
	.section	.AMDGPU.csdata,"",@progbits
; Kernel info:
; codeLenInByte = 404
; TotalNumSgprs: 10
; NumVgprs: 17
; ScratchSize: 0
; MemoryBound: 0
; FloatMode: 240
; IeeeMode: 1
; LDSByteSize: 4224 bytes/workgroup (compile time only)
; SGPRBlocks: 0
; VGPRBlocks: 1
; NumSGPRsForWavesPerEU: 10
; NumVGPRsForWavesPerEU: 17
; NamedBarCnt: 0
; Occupancy: 16
; WaveLimiterHint : 0
; COMPUTE_PGM_RSRC2:SCRATCH_EN: 0
; COMPUTE_PGM_RSRC2:USER_SGPR: 2
; COMPUTE_PGM_RSRC2:TRAP_HANDLER: 0
; COMPUTE_PGM_RSRC2:TGID_X_EN: 1
; COMPUTE_PGM_RSRC2:TGID_Y_EN: 0
; COMPUTE_PGM_RSRC2:TGID_Z_EN: 0
; COMPUTE_PGM_RSRC2:TIDIG_COMP_CNT: 0
	.section	.text._Z30blocked_to_warp_striped_kernelItjLj300ELj3EEvPT_PT0_,"axG",@progbits,_Z30blocked_to_warp_striped_kernelItjLj300ELj3EEvPT_PT0_,comdat
	.protected	_Z30blocked_to_warp_striped_kernelItjLj300ELj3EEvPT_PT0_ ; -- Begin function _Z30blocked_to_warp_striped_kernelItjLj300ELj3EEvPT_PT0_
	.globl	_Z30blocked_to_warp_striped_kernelItjLj300ELj3EEvPT_PT0_
	.p2align	8
	.type	_Z30blocked_to_warp_striped_kernelItjLj300ELj3EEvPT_PT0_,@function
_Z30blocked_to_warp_striped_kernelItjLj300ELj3EEvPT_PT0_: ; @_Z30blocked_to_warp_striped_kernelItjLj300ELj3EEvPT_PT0_
; %bb.0:
	s_load_b128 s[0:3], s[0:1], 0x0
	s_bfe_u32 s4, ttmp6, 0x4000c
	s_and_b32 s5, ttmp6, 15
	s_add_co_i32 s4, s4, 1
	s_getreg_b32 s6, hwreg(HW_REG_IB_STS2, 6, 4)
	s_mul_i32 s4, ttmp9, s4
	v_mul_u32_u24_e32 v3, 3, v0
	s_add_co_i32 s5, s5, s4
	s_cmp_eq_u32 s6, 0
	v_mbcnt_lo_u32_b32 v5, -1, 0
	s_cselect_b32 s4, ttmp9, s5
	s_mov_b32 s5, 0
	s_mulk_i32 s4, 0x12c
	v_lshlrev_b32_e32 v1, 1, v3
	s_lshl_b64 s[6:7], s[4:5], 1
	s_wait_kmcnt 0x0
	s_add_nc_u64 s[0:1], s[0:1], s[6:7]
	s_clause 0x1
	global_load_b32 v2, v1, s[0:1]
	global_load_u16 v4, v3, s[0:1] offset:4 scale_offset
	s_wait_xcnt 0x0
	v_dual_lshrrev_b32 v1, 6, v0 :: v_dual_lshlrev_b32 v3, 2, v3
	v_and_b32_e32 v0, 0x1c0, v0
	s_lshl_b64 s[0:1], s[4:5], 2
	s_delay_alu instid0(VALU_DEP_2) | instskip(SKIP_1) | instid1(VALU_DEP_2)
	v_mul_u32_u24_e32 v1, 0xc0, v1
	s_add_nc_u64 s[0:1], s[2:3], s[0:1]
	v_cmp_eq_u32_e32 vcc_lo, 64, v0
	s_delay_alu instid0(VALU_DEP_2) | instskip(SKIP_2) | instid1(VALU_DEP_3)
	v_or_b32_e32 v6, v5, v1
	v_mul_u32_u24_e32 v5, 3, v5
	v_cndmask_b32_e64 v0, 64, 36, vcc_lo
	v_lshlrev_b32_e32 v6, 1, v6
	s_delay_alu instid0(VALU_DEP_3)
	v_add_lshl_u32 v1, v5, v1, 1
	s_wait_loadcnt 0x1
	ds_store_b32 v1, v2
	s_wait_loadcnt 0x0
	ds_store_b16 v1, v4 offset:4
	v_lshl_add_u32 v5, v0, 1, v6
	v_lshl_add_u32 v7, v0, 2, v6
	; wave barrier
	ds_load_u16 v0, v6
	ds_load_u16 v1, v5
	;; [unrolled: 1-line block ×3, first 2 shown]
	s_wait_dscnt 0x0
	global_store_b96 v3, v[0:2], s[0:1]
	s_endpgm
	.section	.rodata,"a",@progbits
	.p2align	6, 0x0
	.amdhsa_kernel _Z30blocked_to_warp_striped_kernelItjLj300ELj3EEvPT_PT0_
		.amdhsa_group_segment_fixed_size 608
		.amdhsa_private_segment_fixed_size 0
		.amdhsa_kernarg_size 16
		.amdhsa_user_sgpr_count 2
		.amdhsa_user_sgpr_dispatch_ptr 0
		.amdhsa_user_sgpr_queue_ptr 0
		.amdhsa_user_sgpr_kernarg_segment_ptr 1
		.amdhsa_user_sgpr_dispatch_id 0
		.amdhsa_user_sgpr_kernarg_preload_length 0
		.amdhsa_user_sgpr_kernarg_preload_offset 0
		.amdhsa_user_sgpr_private_segment_size 0
		.amdhsa_wavefront_size32 1
		.amdhsa_uses_dynamic_stack 0
		.amdhsa_enable_private_segment 0
		.amdhsa_system_sgpr_workgroup_id_x 1
		.amdhsa_system_sgpr_workgroup_id_y 0
		.amdhsa_system_sgpr_workgroup_id_z 0
		.amdhsa_system_sgpr_workgroup_info 0
		.amdhsa_system_vgpr_workitem_id 0
		.amdhsa_next_free_vgpr 8
		.amdhsa_next_free_sgpr 8
		.amdhsa_named_barrier_count 0
		.amdhsa_reserve_vcc 1
		.amdhsa_float_round_mode_32 0
		.amdhsa_float_round_mode_16_64 0
		.amdhsa_float_denorm_mode_32 3
		.amdhsa_float_denorm_mode_16_64 3
		.amdhsa_fp16_overflow 0
		.amdhsa_memory_ordered 1
		.amdhsa_forward_progress 1
		.amdhsa_inst_pref_size 3
		.amdhsa_round_robin_scheduling 0
		.amdhsa_exception_fp_ieee_invalid_op 0
		.amdhsa_exception_fp_denorm_src 0
		.amdhsa_exception_fp_ieee_div_zero 0
		.amdhsa_exception_fp_ieee_overflow 0
		.amdhsa_exception_fp_ieee_underflow 0
		.amdhsa_exception_fp_ieee_inexact 0
		.amdhsa_exception_int_div_zero 0
	.end_amdhsa_kernel
	.section	.text._Z30blocked_to_warp_striped_kernelItjLj300ELj3EEvPT_PT0_,"axG",@progbits,_Z30blocked_to_warp_striped_kernelItjLj300ELj3EEvPT_PT0_,comdat
.Lfunc_end39:
	.size	_Z30blocked_to_warp_striped_kernelItjLj300ELj3EEvPT_PT0_, .Lfunc_end39-_Z30blocked_to_warp_striped_kernelItjLj300ELj3EEvPT_PT0_
                                        ; -- End function
	.set _Z30blocked_to_warp_striped_kernelItjLj300ELj3EEvPT_PT0_.num_vgpr, 8
	.set _Z30blocked_to_warp_striped_kernelItjLj300ELj3EEvPT_PT0_.num_agpr, 0
	.set _Z30blocked_to_warp_striped_kernelItjLj300ELj3EEvPT_PT0_.numbered_sgpr, 8
	.set _Z30blocked_to_warp_striped_kernelItjLj300ELj3EEvPT_PT0_.num_named_barrier, 0
	.set _Z30blocked_to_warp_striped_kernelItjLj300ELj3EEvPT_PT0_.private_seg_size, 0
	.set _Z30blocked_to_warp_striped_kernelItjLj300ELj3EEvPT_PT0_.uses_vcc, 1
	.set _Z30blocked_to_warp_striped_kernelItjLj300ELj3EEvPT_PT0_.uses_flat_scratch, 0
	.set _Z30blocked_to_warp_striped_kernelItjLj300ELj3EEvPT_PT0_.has_dyn_sized_stack, 0
	.set _Z30blocked_to_warp_striped_kernelItjLj300ELj3EEvPT_PT0_.has_recursion, 0
	.set _Z30blocked_to_warp_striped_kernelItjLj300ELj3EEvPT_PT0_.has_indirect_call, 0
	.section	.AMDGPU.csdata,"",@progbits
; Kernel info:
; codeLenInByte = 276
; TotalNumSgprs: 10
; NumVgprs: 8
; ScratchSize: 0
; MemoryBound: 0
; FloatMode: 240
; IeeeMode: 1
; LDSByteSize: 608 bytes/workgroup (compile time only)
; SGPRBlocks: 0
; VGPRBlocks: 0
; NumSGPRsForWavesPerEU: 10
; NumVGPRsForWavesPerEU: 8
; NamedBarCnt: 0
; Occupancy: 16
; WaveLimiterHint : 0
; COMPUTE_PGM_RSRC2:SCRATCH_EN: 0
; COMPUTE_PGM_RSRC2:USER_SGPR: 2
; COMPUTE_PGM_RSRC2:TRAP_HANDLER: 0
; COMPUTE_PGM_RSRC2:TGID_X_EN: 1
; COMPUTE_PGM_RSRC2:TGID_Y_EN: 0
; COMPUTE_PGM_RSRC2:TGID_Z_EN: 0
; COMPUTE_PGM_RSRC2:TIDIG_COMP_CNT: 0
	.section	.text._Z30blocked_to_warp_striped_kernelIc5dummyIdELj928ELj2EEvPT_PT0_,"axG",@progbits,_Z30blocked_to_warp_striped_kernelIc5dummyIdELj928ELj2EEvPT_PT0_,comdat
	.protected	_Z30blocked_to_warp_striped_kernelIc5dummyIdELj928ELj2EEvPT_PT0_ ; -- Begin function _Z30blocked_to_warp_striped_kernelIc5dummyIdELj928ELj2EEvPT_PT0_
	.globl	_Z30blocked_to_warp_striped_kernelIc5dummyIdELj928ELj2EEvPT_PT0_
	.p2align	8
	.type	_Z30blocked_to_warp_striped_kernelIc5dummyIdELj928ELj2EEvPT_PT0_,@function
_Z30blocked_to_warp_striped_kernelIc5dummyIdELj928ELj2EEvPT_PT0_: ; @_Z30blocked_to_warp_striped_kernelIc5dummyIdELj928ELj2EEvPT_PT0_
; %bb.0:
	s_load_b128 s[0:3], s[0:1], 0x0
	s_bfe_u32 s4, ttmp6, 0x4000c
	s_and_b32 s5, ttmp6, 15
	s_add_co_i32 s4, s4, 1
	s_getreg_b32 s6, hwreg(HW_REG_IB_STS2, 6, 4)
	s_mul_i32 s4, ttmp9, s4
	v_and_b32_e32 v3, 0x1c0, v0
	s_add_co_i32 s5, s5, s4
	s_cmp_eq_u32 s6, 0
	v_mbcnt_lo_u32_b32 v4, -1, 0
	s_cselect_b32 s4, ttmp9, s5
	s_mov_b32 s5, 0
	s_mulk_i32 s4, 0x3a0
	v_cmp_eq_u32_e32 vcc_lo, 0x1c0, v3
	v_cndmask_b32_e64 v5, 64, 16, vcc_lo
	v_lshlrev_b32_e32 v2, 1, v0
	s_wait_kmcnt 0x0
	s_add_nc_u64 s[0:1], s[0:1], s[4:5]
	global_load_u16 v1, v0, s[0:1] scale_offset
	s_wait_xcnt 0x0
	v_lshlrev_b32_e32 v0, 5, v0
	v_and_b32_e32 v2, 0x380, v2
	s_lshl_b64 s[0:1], s[4:5], 4
	s_delay_alu instid0(SALU_CYCLE_1) | instskip(NEXT) | instid1(VALU_DEP_1)
	s_add_nc_u64 s[0:1], s[2:3], s[0:1]
	v_or_b32_e32 v6, v4, v2
	v_dual_lshrrev_b32 v3, 4, v3 :: v_dual_bitop2_b32 v4, v4, v3 bitop3:0x54
	s_delay_alu instid0(VALU_DEP_2) | instskip(NEXT) | instid1(VALU_DEP_2)
	v_add_nc_u32_e32 v5, v6, v5
	v_lshl_add_u32 v3, v4, 1, v3
	s_delay_alu instid0(VALU_DEP_2) | instskip(NEXT) | instid1(VALU_DEP_1)
	v_dual_lshrrev_b32 v7, 5, v5 :: v_dual_lshrrev_b32 v2, 5, v2
	v_dual_add_nc_u32 v2, v2, v6 :: v_dual_bitop2_b32 v7, 28, v7 bitop3:0x40
	s_delay_alu instid0(VALU_DEP_1)
	v_add_nc_u32_e32 v4, v7, v5
	s_wait_loadcnt 0x0
	ds_store_b16 v3, v1
	; wave barrier
	ds_load_i8 v1, v2
	ds_load_i8 v2, v4
	s_wait_dscnt 0x1
	v_dual_add_nc_u32 v3, 1, v1 :: v_dual_lshlrev_b32 v1, 1, v1
	s_wait_dscnt 0x0
	v_dual_add_nc_u32 v6, 1, v2 :: v_dual_lshlrev_b32 v8, 1, v2
	s_delay_alu instid0(VALU_DEP_2) | instskip(NEXT) | instid1(VALU_DEP_3)
	v_cvt_f64_i32_e32 v[2:3], v3
	v_cvt_f64_i32_e32 v[4:5], v1
	s_delay_alu instid0(VALU_DEP_3) | instskip(NEXT) | instid1(VALU_DEP_4)
	v_cvt_f64_i32_e32 v[6:7], v6
	v_cvt_f64_i32_e32 v[8:9], v8
	s_clause 0x1
	global_store_b128 v0, v[2:5], s[0:1]
	global_store_b128 v0, v[6:9], s[0:1] offset:16
	s_endpgm
	.section	.rodata,"a",@progbits
	.p2align	6, 0x0
	.amdhsa_kernel _Z30blocked_to_warp_striped_kernelIc5dummyIdELj928ELj2EEvPT_PT0_
		.amdhsa_group_segment_fixed_size 960
		.amdhsa_private_segment_fixed_size 0
		.amdhsa_kernarg_size 16
		.amdhsa_user_sgpr_count 2
		.amdhsa_user_sgpr_dispatch_ptr 0
		.amdhsa_user_sgpr_queue_ptr 0
		.amdhsa_user_sgpr_kernarg_segment_ptr 1
		.amdhsa_user_sgpr_dispatch_id 0
		.amdhsa_user_sgpr_kernarg_preload_length 0
		.amdhsa_user_sgpr_kernarg_preload_offset 0
		.amdhsa_user_sgpr_private_segment_size 0
		.amdhsa_wavefront_size32 1
		.amdhsa_uses_dynamic_stack 0
		.amdhsa_enable_private_segment 0
		.amdhsa_system_sgpr_workgroup_id_x 1
		.amdhsa_system_sgpr_workgroup_id_y 0
		.amdhsa_system_sgpr_workgroup_id_z 0
		.amdhsa_system_sgpr_workgroup_info 0
		.amdhsa_system_vgpr_workitem_id 0
		.amdhsa_next_free_vgpr 10
		.amdhsa_next_free_sgpr 7
		.amdhsa_named_barrier_count 0
		.amdhsa_reserve_vcc 1
		.amdhsa_float_round_mode_32 0
		.amdhsa_float_round_mode_16_64 0
		.amdhsa_float_denorm_mode_32 3
		.amdhsa_float_denorm_mode_16_64 3
		.amdhsa_fp16_overflow 0
		.amdhsa_memory_ordered 1
		.amdhsa_forward_progress 1
		.amdhsa_inst_pref_size 3
		.amdhsa_round_robin_scheduling 0
		.amdhsa_exception_fp_ieee_invalid_op 0
		.amdhsa_exception_fp_denorm_src 0
		.amdhsa_exception_fp_ieee_div_zero 0
		.amdhsa_exception_fp_ieee_overflow 0
		.amdhsa_exception_fp_ieee_underflow 0
		.amdhsa_exception_fp_ieee_inexact 0
		.amdhsa_exception_int_div_zero 0
	.end_amdhsa_kernel
	.section	.text._Z30blocked_to_warp_striped_kernelIc5dummyIdELj928ELj2EEvPT_PT0_,"axG",@progbits,_Z30blocked_to_warp_striped_kernelIc5dummyIdELj928ELj2EEvPT_PT0_,comdat
.Lfunc_end40:
	.size	_Z30blocked_to_warp_striped_kernelIc5dummyIdELj928ELj2EEvPT_PT0_, .Lfunc_end40-_Z30blocked_to_warp_striped_kernelIc5dummyIdELj928ELj2EEvPT_PT0_
                                        ; -- End function
	.set _Z30blocked_to_warp_striped_kernelIc5dummyIdELj928ELj2EEvPT_PT0_.num_vgpr, 10
	.set _Z30blocked_to_warp_striped_kernelIc5dummyIdELj928ELj2EEvPT_PT0_.num_agpr, 0
	.set _Z30blocked_to_warp_striped_kernelIc5dummyIdELj928ELj2EEvPT_PT0_.numbered_sgpr, 7
	.set _Z30blocked_to_warp_striped_kernelIc5dummyIdELj928ELj2EEvPT_PT0_.num_named_barrier, 0
	.set _Z30blocked_to_warp_striped_kernelIc5dummyIdELj928ELj2EEvPT_PT0_.private_seg_size, 0
	.set _Z30blocked_to_warp_striped_kernelIc5dummyIdELj928ELj2EEvPT_PT0_.uses_vcc, 1
	.set _Z30blocked_to_warp_striped_kernelIc5dummyIdELj928ELj2EEvPT_PT0_.uses_flat_scratch, 0
	.set _Z30blocked_to_warp_striped_kernelIc5dummyIdELj928ELj2EEvPT_PT0_.has_dyn_sized_stack, 0
	.set _Z30blocked_to_warp_striped_kernelIc5dummyIdELj928ELj2EEvPT_PT0_.has_recursion, 0
	.set _Z30blocked_to_warp_striped_kernelIc5dummyIdELj928ELj2EEvPT_PT0_.has_indirect_call, 0
	.section	.AMDGPU.csdata,"",@progbits
; Kernel info:
; codeLenInByte = 320
; TotalNumSgprs: 9
; NumVgprs: 10
; ScratchSize: 0
; MemoryBound: 0
; FloatMode: 240
; IeeeMode: 1
; LDSByteSize: 960 bytes/workgroup (compile time only)
; SGPRBlocks: 0
; VGPRBlocks: 0
; NumSGPRsForWavesPerEU: 9
; NumVGPRsForWavesPerEU: 10
; NamedBarCnt: 0
; Occupancy: 16
; WaveLimiterHint : 0
; COMPUTE_PGM_RSRC2:SCRATCH_EN: 0
; COMPUTE_PGM_RSRC2:USER_SGPR: 2
; COMPUTE_PGM_RSRC2:TRAP_HANDLER: 0
; COMPUTE_PGM_RSRC2:TGID_X_EN: 1
; COMPUTE_PGM_RSRC2:TGID_Y_EN: 0
; COMPUTE_PGM_RSRC2:TGID_Z_EN: 0
; COMPUTE_PGM_RSRC2:TIDIG_COMP_CNT: 0
	.section	.text._Z30blocked_to_warp_striped_kernelIfiLj165ELj5EEvPT_PT0_,"axG",@progbits,_Z30blocked_to_warp_striped_kernelIfiLj165ELj5EEvPT_PT0_,comdat
	.protected	_Z30blocked_to_warp_striped_kernelIfiLj165ELj5EEvPT_PT0_ ; -- Begin function _Z30blocked_to_warp_striped_kernelIfiLj165ELj5EEvPT_PT0_
	.globl	_Z30blocked_to_warp_striped_kernelIfiLj165ELj5EEvPT_PT0_
	.p2align	8
	.type	_Z30blocked_to_warp_striped_kernelIfiLj165ELj5EEvPT_PT0_,@function
_Z30blocked_to_warp_striped_kernelIfiLj165ELj5EEvPT_PT0_: ; @_Z30blocked_to_warp_striped_kernelIfiLj165ELj5EEvPT_PT0_
; %bb.0:
	s_load_b128 s[0:3], s[0:1], 0x0
	s_bfe_u32 s4, ttmp6, 0x4000c
	s_and_b32 s5, ttmp6, 15
	s_add_co_i32 s4, s4, 1
	s_getreg_b32 s6, hwreg(HW_REG_IB_STS2, 6, 4)
	s_mul_i32 s4, ttmp9, s4
	v_mul_u32_u24_e32 v6, 5, v0
	s_add_co_i32 s5, s5, s4
	s_cmp_eq_u32 s6, 0
	v_lshrrev_b32_e32 v8, 6, v0
	s_cselect_b32 s4, ttmp9, s5
	s_mov_b32 s5, 0
	s_mulk_i32 s4, 0xa5
	v_lshlrev_b32_e32 v7, 2, v6
	s_lshl_b64 s[4:5], s[4:5], 2
	v_mbcnt_lo_u32_b32 v9, -1, 0
	v_mul_u32_u24_e32 v8, 0x140, v8
	v_cmp_gt_u32_e32 vcc_lo, 64, v0
	s_wait_kmcnt 0x0
	s_add_nc_u64 s[0:1], s[0:1], s[4:5]
	s_delay_alu instid0(VALU_DEP_2)
	v_or_b32_e32 v10, v9, v8
	s_clause 0x1
	global_load_b128 v[2:5], v7, s[0:1]
	global_load_b32 v1, v6, s[0:1] offset:16 scale_offset
	v_mul_u32_u24_e32 v9, 5, v9
	v_cndmask_b32_e64 v0, 64, 33, vcc_lo
	s_wait_xcnt 0x0
	s_add_nc_u64 s[0:1], s[2:3], s[4:5]
	v_lshlrev_b32_e32 v10, 2, v10
	v_add_lshl_u32 v8, v9, v8, 2
	s_wait_loadcnt 0x1
	ds_store_2addr_b32 v8, v2, v3 offset1:1
	ds_store_2addr_b32 v8, v4, v5 offset0:2 offset1:3
	s_wait_loadcnt 0x0
	ds_store_b32 v8, v1 offset:16
	v_lshl_add_u32 v9, v0, 2, v10
	v_mad_u32_u24 v12, v0, 12, v10
	v_lshl_add_u32 v11, v0, 3, v10
	v_lshl_add_u32 v0, v0, 4, v10
	; wave barrier
	ds_load_b32 v1, v9
	ds_load_b32 v2, v10
	;; [unrolled: 1-line block ×5, first 2 shown]
	s_wait_dscnt 0x4
	v_cvt_i32_f32_e32 v1, v1
	s_wait_dscnt 0x3
	v_cvt_i32_f32_e32 v0, v2
	;; [unrolled: 2-line block ×5, first 2 shown]
	s_clause 0x1
	global_store_b128 v7, v[0:3], s[0:1]
	global_store_b32 v6, v4, s[0:1] offset:16 scale_offset
	s_endpgm
	.section	.rodata,"a",@progbits
	.p2align	6, 0x0
	.amdhsa_kernel _Z30blocked_to_warp_striped_kernelIfiLj165ELj5EEvPT_PT0_
		.amdhsa_group_segment_fixed_size 672
		.amdhsa_private_segment_fixed_size 0
		.amdhsa_kernarg_size 16
		.amdhsa_user_sgpr_count 2
		.amdhsa_user_sgpr_dispatch_ptr 0
		.amdhsa_user_sgpr_queue_ptr 0
		.amdhsa_user_sgpr_kernarg_segment_ptr 1
		.amdhsa_user_sgpr_dispatch_id 0
		.amdhsa_user_sgpr_kernarg_preload_length 0
		.amdhsa_user_sgpr_kernarg_preload_offset 0
		.amdhsa_user_sgpr_private_segment_size 0
		.amdhsa_wavefront_size32 1
		.amdhsa_uses_dynamic_stack 0
		.amdhsa_enable_private_segment 0
		.amdhsa_system_sgpr_workgroup_id_x 1
		.amdhsa_system_sgpr_workgroup_id_y 0
		.amdhsa_system_sgpr_workgroup_id_z 0
		.amdhsa_system_sgpr_workgroup_info 0
		.amdhsa_system_vgpr_workitem_id 0
		.amdhsa_next_free_vgpr 13
		.amdhsa_next_free_sgpr 7
		.amdhsa_named_barrier_count 0
		.amdhsa_reserve_vcc 1
		.amdhsa_float_round_mode_32 0
		.amdhsa_float_round_mode_16_64 0
		.amdhsa_float_denorm_mode_32 3
		.amdhsa_float_denorm_mode_16_64 3
		.amdhsa_fp16_overflow 0
		.amdhsa_memory_ordered 1
		.amdhsa_forward_progress 1
		.amdhsa_inst_pref_size 3
		.amdhsa_round_robin_scheduling 0
		.amdhsa_exception_fp_ieee_invalid_op 0
		.amdhsa_exception_fp_denorm_src 0
		.amdhsa_exception_fp_ieee_div_zero 0
		.amdhsa_exception_fp_ieee_overflow 0
		.amdhsa_exception_fp_ieee_underflow 0
		.amdhsa_exception_fp_ieee_inexact 0
		.amdhsa_exception_int_div_zero 0
	.end_amdhsa_kernel
	.section	.text._Z30blocked_to_warp_striped_kernelIfiLj165ELj5EEvPT_PT0_,"axG",@progbits,_Z30blocked_to_warp_striped_kernelIfiLj165ELj5EEvPT_PT0_,comdat
.Lfunc_end41:
	.size	_Z30blocked_to_warp_striped_kernelIfiLj165ELj5EEvPT_PT0_, .Lfunc_end41-_Z30blocked_to_warp_striped_kernelIfiLj165ELj5EEvPT_PT0_
                                        ; -- End function
	.set _Z30blocked_to_warp_striped_kernelIfiLj165ELj5EEvPT_PT0_.num_vgpr, 13
	.set _Z30blocked_to_warp_striped_kernelIfiLj165ELj5EEvPT_PT0_.num_agpr, 0
	.set _Z30blocked_to_warp_striped_kernelIfiLj165ELj5EEvPT_PT0_.numbered_sgpr, 7
	.set _Z30blocked_to_warp_striped_kernelIfiLj165ELj5EEvPT_PT0_.num_named_barrier, 0
	.set _Z30blocked_to_warp_striped_kernelIfiLj165ELj5EEvPT_PT0_.private_seg_size, 0
	.set _Z30blocked_to_warp_striped_kernelIfiLj165ELj5EEvPT_PT0_.uses_vcc, 1
	.set _Z30blocked_to_warp_striped_kernelIfiLj165ELj5EEvPT_PT0_.uses_flat_scratch, 0
	.set _Z30blocked_to_warp_striped_kernelIfiLj165ELj5EEvPT_PT0_.has_dyn_sized_stack, 0
	.set _Z30blocked_to_warp_striped_kernelIfiLj165ELj5EEvPT_PT0_.has_recursion, 0
	.set _Z30blocked_to_warp_striped_kernelIfiLj165ELj5EEvPT_PT0_.has_indirect_call, 0
	.section	.AMDGPU.csdata,"",@progbits
; Kernel info:
; codeLenInByte = 340
; TotalNumSgprs: 9
; NumVgprs: 13
; ScratchSize: 0
; MemoryBound: 0
; FloatMode: 240
; IeeeMode: 1
; LDSByteSize: 672 bytes/workgroup (compile time only)
; SGPRBlocks: 0
; VGPRBlocks: 0
; NumSGPRsForWavesPerEU: 9
; NumVGPRsForWavesPerEU: 13
; NamedBarCnt: 0
; Occupancy: 16
; WaveLimiterHint : 0
; COMPUTE_PGM_RSRC2:SCRATCH_EN: 0
; COMPUTE_PGM_RSRC2:USER_SGPR: 2
; COMPUTE_PGM_RSRC2:TRAP_HANDLER: 0
; COMPUTE_PGM_RSRC2:TGID_X_EN: 1
; COMPUTE_PGM_RSRC2:TGID_Y_EN: 0
; COMPUTE_PGM_RSRC2:TGID_Z_EN: 0
; COMPUTE_PGM_RSRC2:TIDIG_COMP_CNT: 0
	.section	.text._Z30blocked_to_warp_striped_kernelIidLj165ELj5EEvPT_PT0_,"axG",@progbits,_Z30blocked_to_warp_striped_kernelIidLj165ELj5EEvPT_PT0_,comdat
	.protected	_Z30blocked_to_warp_striped_kernelIidLj165ELj5EEvPT_PT0_ ; -- Begin function _Z30blocked_to_warp_striped_kernelIidLj165ELj5EEvPT_PT0_
	.globl	_Z30blocked_to_warp_striped_kernelIidLj165ELj5EEvPT_PT0_
	.p2align	8
	.type	_Z30blocked_to_warp_striped_kernelIidLj165ELj5EEvPT_PT0_,@function
_Z30blocked_to_warp_striped_kernelIidLj165ELj5EEvPT_PT0_: ; @_Z30blocked_to_warp_striped_kernelIidLj165ELj5EEvPT_PT0_
; %bb.0:
	s_load_b128 s[0:3], s[0:1], 0x0
	s_bfe_u32 s4, ttmp6, 0x4000c
	s_and_b32 s5, ttmp6, 15
	s_add_co_i32 s4, s4, 1
	s_getreg_b32 s6, hwreg(HW_REG_IB_STS2, 6, 4)
	s_mul_i32 s4, ttmp9, s4
	v_mul_u32_u24_e32 v10, 5, v0
	s_add_co_i32 s5, s5, s4
	s_cmp_eq_u32 s6, 0
	v_mbcnt_lo_u32_b32 v7, -1, 0
	s_cselect_b32 s4, ttmp9, s5
	s_mov_b32 s5, 0
	s_mulk_i32 s4, 0xa5
	v_lshlrev_b32_e32 v1, 2, v10
	s_lshl_b64 s[6:7], s[4:5], 2
	v_cmp_gt_u32_e32 vcc_lo, 64, v0
	s_wait_kmcnt 0x0
	s_add_nc_u64 s[0:1], s[0:1], s[6:7]
	s_clause 0x1
	global_load_b128 v[2:5], v1, s[0:1]
	global_load_b32 v6, v10, s[0:1] offset:16 scale_offset
	s_wait_xcnt 0x1
	v_lshrrev_b32_e32 v1, 6, v0
	v_cndmask_b32_e64 v0, 64, 33, vcc_lo
	s_wait_xcnt 0x0
	s_lshl_b64 s[0:1], s[4:5], 3
	s_delay_alu instid0(SALU_CYCLE_1) | instskip(SKIP_1) | instid1(VALU_DEP_1)
	s_add_nc_u64 s[0:1], s[2:3], s[0:1]
	v_mul_u32_u24_e32 v1, 0x140, v1
	v_or_b32_e32 v8, v7, v1
	v_mul_u32_u24_e32 v7, 5, v7
	s_delay_alu instid0(VALU_DEP_2) | instskip(NEXT) | instid1(VALU_DEP_2)
	v_lshlrev_b32_e32 v8, 2, v8
	v_add_lshl_u32 v1, v7, v1, 2
	s_wait_loadcnt 0x1
	ds_store_2addr_b32 v1, v2, v3 offset1:1
	ds_store_2addr_b32 v1, v4, v5 offset0:2 offset1:3
	s_wait_loadcnt 0x0
	ds_store_b32 v1, v6 offset:16
	v_lshl_add_u32 v9, v0, 3, v8
	v_mad_u32_u24 v11, v0, 12, v8
	v_lshl_add_u32 v7, v0, 2, v8
	v_lshl_add_u32 v0, v0, 4, v8
	; wave barrier
	ds_load_b32 v1, v8
	ds_load_b32 v2, v9
	;; [unrolled: 1-line block ×5, first 2 shown]
	v_lshlrev_b32_e32 v11, 3, v10
	s_wait_dscnt 0x4
	v_cvt_f64_i32_e32 v[0:1], v1
	s_wait_dscnt 0x3
	v_cvt_f64_i32_e32 v[4:5], v2
	;; [unrolled: 2-line block ×5, first 2 shown]
	s_clause 0x2
	global_store_b128 v11, v[4:7], s[0:1] offset:16
	global_store_b128 v11, v[0:3], s[0:1]
	global_store_b64 v10, v[8:9], s[0:1] offset:32 scale_offset
	s_endpgm
	.section	.rodata,"a",@progbits
	.p2align	6, 0x0
	.amdhsa_kernel _Z30blocked_to_warp_striped_kernelIidLj165ELj5EEvPT_PT0_
		.amdhsa_group_segment_fixed_size 672
		.amdhsa_private_segment_fixed_size 0
		.amdhsa_kernarg_size 16
		.amdhsa_user_sgpr_count 2
		.amdhsa_user_sgpr_dispatch_ptr 0
		.amdhsa_user_sgpr_queue_ptr 0
		.amdhsa_user_sgpr_kernarg_segment_ptr 1
		.amdhsa_user_sgpr_dispatch_id 0
		.amdhsa_user_sgpr_kernarg_preload_length 0
		.amdhsa_user_sgpr_kernarg_preload_offset 0
		.amdhsa_user_sgpr_private_segment_size 0
		.amdhsa_wavefront_size32 1
		.amdhsa_uses_dynamic_stack 0
		.amdhsa_enable_private_segment 0
		.amdhsa_system_sgpr_workgroup_id_x 1
		.amdhsa_system_sgpr_workgroup_id_y 0
		.amdhsa_system_sgpr_workgroup_id_z 0
		.amdhsa_system_sgpr_workgroup_info 0
		.amdhsa_system_vgpr_workitem_id 0
		.amdhsa_next_free_vgpr 12
		.amdhsa_next_free_sgpr 8
		.amdhsa_named_barrier_count 0
		.amdhsa_reserve_vcc 1
		.amdhsa_float_round_mode_32 0
		.amdhsa_float_round_mode_16_64 0
		.amdhsa_float_denorm_mode_32 3
		.amdhsa_float_denorm_mode_16_64 3
		.amdhsa_fp16_overflow 0
		.amdhsa_memory_ordered 1
		.amdhsa_forward_progress 1
		.amdhsa_inst_pref_size 3
		.amdhsa_round_robin_scheduling 0
		.amdhsa_exception_fp_ieee_invalid_op 0
		.amdhsa_exception_fp_denorm_src 0
		.amdhsa_exception_fp_ieee_div_zero 0
		.amdhsa_exception_fp_ieee_overflow 0
		.amdhsa_exception_fp_ieee_underflow 0
		.amdhsa_exception_fp_ieee_inexact 0
		.amdhsa_exception_int_div_zero 0
	.end_amdhsa_kernel
	.section	.text._Z30blocked_to_warp_striped_kernelIidLj165ELj5EEvPT_PT0_,"axG",@progbits,_Z30blocked_to_warp_striped_kernelIidLj165ELj5EEvPT_PT0_,comdat
.Lfunc_end42:
	.size	_Z30blocked_to_warp_striped_kernelIidLj165ELj5EEvPT_PT0_, .Lfunc_end42-_Z30blocked_to_warp_striped_kernelIidLj165ELj5EEvPT_PT0_
                                        ; -- End function
	.set _Z30blocked_to_warp_striped_kernelIidLj165ELj5EEvPT_PT0_.num_vgpr, 12
	.set _Z30blocked_to_warp_striped_kernelIidLj165ELj5EEvPT_PT0_.num_agpr, 0
	.set _Z30blocked_to_warp_striped_kernelIidLj165ELj5EEvPT_PT0_.numbered_sgpr, 8
	.set _Z30blocked_to_warp_striped_kernelIidLj165ELj5EEvPT_PT0_.num_named_barrier, 0
	.set _Z30blocked_to_warp_striped_kernelIidLj165ELj5EEvPT_PT0_.private_seg_size, 0
	.set _Z30blocked_to_warp_striped_kernelIidLj165ELj5EEvPT_PT0_.uses_vcc, 1
	.set _Z30blocked_to_warp_striped_kernelIidLj165ELj5EEvPT_PT0_.uses_flat_scratch, 0
	.set _Z30blocked_to_warp_striped_kernelIidLj165ELj5EEvPT_PT0_.has_dyn_sized_stack, 0
	.set _Z30blocked_to_warp_striped_kernelIidLj165ELj5EEvPT_PT0_.has_recursion, 0
	.set _Z30blocked_to_warp_striped_kernelIidLj165ELj5EEvPT_PT0_.has_indirect_call, 0
	.section	.AMDGPU.csdata,"",@progbits
; Kernel info:
; codeLenInByte = 368
; TotalNumSgprs: 10
; NumVgprs: 12
; ScratchSize: 0
; MemoryBound: 0
; FloatMode: 240
; IeeeMode: 1
; LDSByteSize: 672 bytes/workgroup (compile time only)
; SGPRBlocks: 0
; VGPRBlocks: 0
; NumSGPRsForWavesPerEU: 10
; NumVGPRsForWavesPerEU: 12
; NamedBarCnt: 0
; Occupancy: 16
; WaveLimiterHint : 0
; COMPUTE_PGM_RSRC2:SCRATCH_EN: 0
; COMPUTE_PGM_RSRC2:USER_SGPR: 2
; COMPUTE_PGM_RSRC2:TRAP_HANDLER: 0
; COMPUTE_PGM_RSRC2:TGID_X_EN: 1
; COMPUTE_PGM_RSRC2:TGID_Y_EN: 0
; COMPUTE_PGM_RSRC2:TGID_Z_EN: 0
; COMPUTE_PGM_RSRC2:TIDIG_COMP_CNT: 0
	.section	.text._Z30blocked_to_warp_striped_kernelIyyLj192ELj3EEvPT_PT0_,"axG",@progbits,_Z30blocked_to_warp_striped_kernelIyyLj192ELj3EEvPT_PT0_,comdat
	.protected	_Z30blocked_to_warp_striped_kernelIyyLj192ELj3EEvPT_PT0_ ; -- Begin function _Z30blocked_to_warp_striped_kernelIyyLj192ELj3EEvPT_PT0_
	.globl	_Z30blocked_to_warp_striped_kernelIyyLj192ELj3EEvPT_PT0_
	.p2align	8
	.type	_Z30blocked_to_warp_striped_kernelIyyLj192ELj3EEvPT_PT0_,@function
_Z30blocked_to_warp_striped_kernelIyyLj192ELj3EEvPT_PT0_: ; @_Z30blocked_to_warp_striped_kernelIyyLj192ELj3EEvPT_PT0_
; %bb.0:
	s_load_b128 s[0:3], s[0:1], 0x0
	s_bfe_u32 s4, ttmp6, 0x4000c
	v_mul_u32_u24_e32 v8, 3, v0
	s_add_co_i32 s4, s4, 1
	v_lshrrev_b32_e32 v0, 6, v0
	s_and_b32 s5, ttmp6, 15
	s_mul_i32 s4, ttmp9, s4
	s_getreg_b32 s6, hwreg(HW_REG_IB_STS2, 6, 4)
	s_add_co_i32 s5, s5, s4
	s_cmp_eq_u32 s6, 0
	v_mbcnt_lo_u32_b32 v1, -1, 0
	v_mul_u32_u24_e32 v0, 0xc0, v0
	s_cselect_b32 s4, ttmp9, s5
	s_mov_b32 s5, 0
	s_mulk_i32 s4, 0xc0
	v_mul_u32_u24_e32 v10, 3, v1
	v_or_b32_e32 v1, v1, v0
	v_lshlrev_b32_e32 v9, 3, v8
	s_lshl_b64 s[4:5], s[4:5], 3
	s_delay_alu instid0(VALU_DEP_3)
	v_add_lshl_u32 v0, v10, v0, 3
	s_wait_kmcnt 0x0
	s_add_nc_u64 s[0:1], s[0:1], s[4:5]
	v_lshlrev_b32_e32 v10, 3, v1
	s_clause 0x1
	global_load_b128 v[2:5], v9, s[0:1]
	global_load_b64 v[6:7], v8, s[0:1] offset:16 scale_offset
	s_wait_xcnt 0x0
	s_add_nc_u64 s[0:1], s[2:3], s[4:5]
	s_wait_loadcnt 0x1
	ds_store_2addr_b64 v0, v[2:3], v[4:5] offset1:1
	s_wait_loadcnt 0x0
	ds_store_b64 v0, v[6:7] offset:16
	; wave barrier
	ds_load_2addr_stride64_b64 v[0:3], v10 offset1:1
	ds_load_b64 v[4:5], v10 offset:1024
	s_wait_dscnt 0x1
	global_store_b128 v9, v[0:3], s[0:1]
	s_wait_dscnt 0x0
	global_store_b64 v8, v[4:5], s[0:1] offset:16 scale_offset
	s_endpgm
	.section	.rodata,"a",@progbits
	.p2align	6, 0x0
	.amdhsa_kernel _Z30blocked_to_warp_striped_kernelIyyLj192ELj3EEvPT_PT0_
		.amdhsa_group_segment_fixed_size 1536
		.amdhsa_private_segment_fixed_size 0
		.amdhsa_kernarg_size 16
		.amdhsa_user_sgpr_count 2
		.amdhsa_user_sgpr_dispatch_ptr 0
		.amdhsa_user_sgpr_queue_ptr 0
		.amdhsa_user_sgpr_kernarg_segment_ptr 1
		.amdhsa_user_sgpr_dispatch_id 0
		.amdhsa_user_sgpr_kernarg_preload_length 0
		.amdhsa_user_sgpr_kernarg_preload_offset 0
		.amdhsa_user_sgpr_private_segment_size 0
		.amdhsa_wavefront_size32 1
		.amdhsa_uses_dynamic_stack 0
		.amdhsa_enable_private_segment 0
		.amdhsa_system_sgpr_workgroup_id_x 1
		.amdhsa_system_sgpr_workgroup_id_y 0
		.amdhsa_system_sgpr_workgroup_id_z 0
		.amdhsa_system_sgpr_workgroup_info 0
		.amdhsa_system_vgpr_workitem_id 0
		.amdhsa_next_free_vgpr 11
		.amdhsa_next_free_sgpr 7
		.amdhsa_named_barrier_count 0
		.amdhsa_reserve_vcc 0
		.amdhsa_float_round_mode_32 0
		.amdhsa_float_round_mode_16_64 0
		.amdhsa_float_denorm_mode_32 3
		.amdhsa_float_denorm_mode_16_64 3
		.amdhsa_fp16_overflow 0
		.amdhsa_memory_ordered 1
		.amdhsa_forward_progress 1
		.amdhsa_inst_pref_size 2
		.amdhsa_round_robin_scheduling 0
		.amdhsa_exception_fp_ieee_invalid_op 0
		.amdhsa_exception_fp_denorm_src 0
		.amdhsa_exception_fp_ieee_div_zero 0
		.amdhsa_exception_fp_ieee_overflow 0
		.amdhsa_exception_fp_ieee_underflow 0
		.amdhsa_exception_fp_ieee_inexact 0
		.amdhsa_exception_int_div_zero 0
	.end_amdhsa_kernel
	.section	.text._Z30blocked_to_warp_striped_kernelIyyLj192ELj3EEvPT_PT0_,"axG",@progbits,_Z30blocked_to_warp_striped_kernelIyyLj192ELj3EEvPT_PT0_,comdat
.Lfunc_end43:
	.size	_Z30blocked_to_warp_striped_kernelIyyLj192ELj3EEvPT_PT0_, .Lfunc_end43-_Z30blocked_to_warp_striped_kernelIyyLj192ELj3EEvPT_PT0_
                                        ; -- End function
	.set _Z30blocked_to_warp_striped_kernelIyyLj192ELj3EEvPT_PT0_.num_vgpr, 11
	.set _Z30blocked_to_warp_striped_kernelIyyLj192ELj3EEvPT_PT0_.num_agpr, 0
	.set _Z30blocked_to_warp_striped_kernelIyyLj192ELj3EEvPT_PT0_.numbered_sgpr, 7
	.set _Z30blocked_to_warp_striped_kernelIyyLj192ELj3EEvPT_PT0_.num_named_barrier, 0
	.set _Z30blocked_to_warp_striped_kernelIyyLj192ELj3EEvPT_PT0_.private_seg_size, 0
	.set _Z30blocked_to_warp_striped_kernelIyyLj192ELj3EEvPT_PT0_.uses_vcc, 0
	.set _Z30blocked_to_warp_striped_kernelIyyLj192ELj3EEvPT_PT0_.uses_flat_scratch, 0
	.set _Z30blocked_to_warp_striped_kernelIyyLj192ELj3EEvPT_PT0_.has_dyn_sized_stack, 0
	.set _Z30blocked_to_warp_striped_kernelIyyLj192ELj3EEvPT_PT0_.has_recursion, 0
	.set _Z30blocked_to_warp_striped_kernelIyyLj192ELj3EEvPT_PT0_.has_indirect_call, 0
	.section	.AMDGPU.csdata,"",@progbits
; Kernel info:
; codeLenInByte = 228
; TotalNumSgprs: 7
; NumVgprs: 11
; ScratchSize: 0
; MemoryBound: 0
; FloatMode: 240
; IeeeMode: 1
; LDSByteSize: 1536 bytes/workgroup (compile time only)
; SGPRBlocks: 0
; VGPRBlocks: 0
; NumSGPRsForWavesPerEU: 7
; NumVGPRsForWavesPerEU: 11
; NamedBarCnt: 0
; Occupancy: 16
; WaveLimiterHint : 0
; COMPUTE_PGM_RSRC2:SCRATCH_EN: 0
; COMPUTE_PGM_RSRC2:USER_SGPR: 2
; COMPUTE_PGM_RSRC2:TRAP_HANDLER: 0
; COMPUTE_PGM_RSRC2:TGID_X_EN: 1
; COMPUTE_PGM_RSRC2:TGID_Y_EN: 0
; COMPUTE_PGM_RSRC2:TGID_Z_EN: 0
; COMPUTE_PGM_RSRC2:TIDIG_COMP_CNT: 0
	.section	.text._Z30blocked_to_warp_striped_kernelIiiLj384ELj3EEvPT_PT0_,"axG",@progbits,_Z30blocked_to_warp_striped_kernelIiiLj384ELj3EEvPT_PT0_,comdat
	.protected	_Z30blocked_to_warp_striped_kernelIiiLj384ELj3EEvPT_PT0_ ; -- Begin function _Z30blocked_to_warp_striped_kernelIiiLj384ELj3EEvPT_PT0_
	.globl	_Z30blocked_to_warp_striped_kernelIiiLj384ELj3EEvPT_PT0_
	.p2align	8
	.type	_Z30blocked_to_warp_striped_kernelIiiLj384ELj3EEvPT_PT0_,@function
_Z30blocked_to_warp_striped_kernelIiiLj384ELj3EEvPT_PT0_: ; @_Z30blocked_to_warp_striped_kernelIiiLj384ELj3EEvPT_PT0_
; %bb.0:
	s_load_b128 s[0:3], s[0:1], 0x0
	s_bfe_u32 s4, ttmp6, 0x4000c
	s_and_b32 s5, ttmp6, 15
	s_add_co_i32 s4, s4, 1
	s_getreg_b32 s6, hwreg(HW_REG_IB_STS2, 6, 4)
	s_mul_i32 s4, ttmp9, s4
	v_mul_u32_u24_e32 v1, 3, v0
	s_add_co_i32 s5, s5, s4
	s_cmp_eq_u32 s6, 0
	v_lshrrev_b32_e32 v0, 6, v0
	s_cselect_b32 s4, ttmp9, s5
	s_mov_b32 s5, 0
	s_mulk_i32 s4, 0x180
	v_lshlrev_b32_e32 v5, 2, v1
	s_lshl_b64 s[4:5], s[4:5], 2
	v_mbcnt_lo_u32_b32 v1, -1, 0
	v_mul_u32_u24_e32 v0, 0xc0, v0
	s_delay_alu instid0(VALU_DEP_2) | instskip(SKIP_2) | instid1(VALU_DEP_2)
	v_mul_u32_u24_e32 v6, 3, v1
	s_wait_kmcnt 0x0
	s_add_nc_u64 s[0:1], s[0:1], s[4:5]
	v_or_b32_e32 v1, v1, v0
	global_load_b96 v[2:4], v5, s[0:1]
	s_wait_xcnt 0x0
	s_add_nc_u64 s[0:1], s[2:3], s[4:5]
	v_add_lshl_u32 v0, v6, v0, 2
	s_wait_loadcnt 0x0
	ds_store_2addr_b32 v0, v2, v3 offset1:1
	ds_store_b32 v0, v4 offset:8
	v_lshlrev_b32_e32 v6, 2, v1
	; wave barrier
	ds_load_2addr_stride64_b32 v[0:1], v6 offset1:1
	ds_load_b32 v2, v6 offset:512
	s_wait_dscnt 0x0
	global_store_b96 v5, v[0:2], s[0:1]
	s_endpgm
	.section	.rodata,"a",@progbits
	.p2align	6, 0x0
	.amdhsa_kernel _Z30blocked_to_warp_striped_kernelIiiLj384ELj3EEvPT_PT0_
		.amdhsa_group_segment_fixed_size 1536
		.amdhsa_private_segment_fixed_size 0
		.amdhsa_kernarg_size 16
		.amdhsa_user_sgpr_count 2
		.amdhsa_user_sgpr_dispatch_ptr 0
		.amdhsa_user_sgpr_queue_ptr 0
		.amdhsa_user_sgpr_kernarg_segment_ptr 1
		.amdhsa_user_sgpr_dispatch_id 0
		.amdhsa_user_sgpr_kernarg_preload_length 0
		.amdhsa_user_sgpr_kernarg_preload_offset 0
		.amdhsa_user_sgpr_private_segment_size 0
		.amdhsa_wavefront_size32 1
		.amdhsa_uses_dynamic_stack 0
		.amdhsa_enable_private_segment 0
		.amdhsa_system_sgpr_workgroup_id_x 1
		.amdhsa_system_sgpr_workgroup_id_y 0
		.amdhsa_system_sgpr_workgroup_id_z 0
		.amdhsa_system_sgpr_workgroup_info 0
		.amdhsa_system_vgpr_workitem_id 0
		.amdhsa_next_free_vgpr 7
		.amdhsa_next_free_sgpr 7
		.amdhsa_named_barrier_count 0
		.amdhsa_reserve_vcc 0
		.amdhsa_float_round_mode_32 0
		.amdhsa_float_round_mode_16_64 0
		.amdhsa_float_denorm_mode_32 3
		.amdhsa_float_denorm_mode_16_64 3
		.amdhsa_fp16_overflow 0
		.amdhsa_memory_ordered 1
		.amdhsa_forward_progress 1
		.amdhsa_inst_pref_size 2
		.amdhsa_round_robin_scheduling 0
		.amdhsa_exception_fp_ieee_invalid_op 0
		.amdhsa_exception_fp_denorm_src 0
		.amdhsa_exception_fp_ieee_div_zero 0
		.amdhsa_exception_fp_ieee_overflow 0
		.amdhsa_exception_fp_ieee_underflow 0
		.amdhsa_exception_fp_ieee_inexact 0
		.amdhsa_exception_int_div_zero 0
	.end_amdhsa_kernel
	.section	.text._Z30blocked_to_warp_striped_kernelIiiLj384ELj3EEvPT_PT0_,"axG",@progbits,_Z30blocked_to_warp_striped_kernelIiiLj384ELj3EEvPT_PT0_,comdat
.Lfunc_end44:
	.size	_Z30blocked_to_warp_striped_kernelIiiLj384ELj3EEvPT_PT0_, .Lfunc_end44-_Z30blocked_to_warp_striped_kernelIiiLj384ELj3EEvPT_PT0_
                                        ; -- End function
	.set _Z30blocked_to_warp_striped_kernelIiiLj384ELj3EEvPT_PT0_.num_vgpr, 7
	.set _Z30blocked_to_warp_striped_kernelIiiLj384ELj3EEvPT_PT0_.num_agpr, 0
	.set _Z30blocked_to_warp_striped_kernelIiiLj384ELj3EEvPT_PT0_.numbered_sgpr, 7
	.set _Z30blocked_to_warp_striped_kernelIiiLj384ELj3EEvPT_PT0_.num_named_barrier, 0
	.set _Z30blocked_to_warp_striped_kernelIiiLj384ELj3EEvPT_PT0_.private_seg_size, 0
	.set _Z30blocked_to_warp_striped_kernelIiiLj384ELj3EEvPT_PT0_.uses_vcc, 0
	.set _Z30blocked_to_warp_striped_kernelIiiLj384ELj3EEvPT_PT0_.uses_flat_scratch, 0
	.set _Z30blocked_to_warp_striped_kernelIiiLj384ELj3EEvPT_PT0_.has_dyn_sized_stack, 0
	.set _Z30blocked_to_warp_striped_kernelIiiLj384ELj3EEvPT_PT0_.has_recursion, 0
	.set _Z30blocked_to_warp_striped_kernelIiiLj384ELj3EEvPT_PT0_.has_indirect_call, 0
	.section	.AMDGPU.csdata,"",@progbits
; Kernel info:
; codeLenInByte = 192
; TotalNumSgprs: 7
; NumVgprs: 7
; ScratchSize: 0
; MemoryBound: 0
; FloatMode: 240
; IeeeMode: 1
; LDSByteSize: 1536 bytes/workgroup (compile time only)
; SGPRBlocks: 0
; VGPRBlocks: 0
; NumSGPRsForWavesPerEU: 7
; NumVGPRsForWavesPerEU: 7
; NamedBarCnt: 0
; Occupancy: 16
; WaveLimiterHint : 0
; COMPUTE_PGM_RSRC2:SCRATCH_EN: 0
; COMPUTE_PGM_RSRC2:USER_SGPR: 2
; COMPUTE_PGM_RSRC2:TRAP_HANDLER: 0
; COMPUTE_PGM_RSRC2:TGID_X_EN: 1
; COMPUTE_PGM_RSRC2:TGID_Y_EN: 0
; COMPUTE_PGM_RSRC2:TGID_Z_EN: 0
; COMPUTE_PGM_RSRC2:TIDIG_COMP_CNT: 0
	.section	.text._Z30blocked_to_warp_striped_kernelIs5dummyIfELj896ELj7EEvPT_PT0_,"axG",@progbits,_Z30blocked_to_warp_striped_kernelIs5dummyIfELj896ELj7EEvPT_PT0_,comdat
	.protected	_Z30blocked_to_warp_striped_kernelIs5dummyIfELj896ELj7EEvPT_PT0_ ; -- Begin function _Z30blocked_to_warp_striped_kernelIs5dummyIfELj896ELj7EEvPT_PT0_
	.globl	_Z30blocked_to_warp_striped_kernelIs5dummyIfELj896ELj7EEvPT_PT0_
	.p2align	8
	.type	_Z30blocked_to_warp_striped_kernelIs5dummyIfELj896ELj7EEvPT_PT0_,@function
_Z30blocked_to_warp_striped_kernelIs5dummyIfELj896ELj7EEvPT_PT0_: ; @_Z30blocked_to_warp_striped_kernelIs5dummyIfELj896ELj7EEvPT_PT0_
; %bb.0:
	s_load_b128 s[0:3], s[0:1], 0x0
	s_bfe_u32 s4, ttmp6, 0x4000c
	s_and_b32 s5, ttmp6, 15
	s_add_co_i32 s4, s4, 1
	s_getreg_b32 s6, hwreg(HW_REG_IB_STS2, 6, 4)
	s_mul_i32 s4, ttmp9, s4
	v_mul_u32_u24_e32 v14, 7, v0
	s_add_co_i32 s5, s5, s4
	s_cmp_eq_u32 s6, 0
	v_lshrrev_b32_e32 v0, 6, v0
	s_cselect_b32 s4, ttmp9, s5
	s_mov_b32 s5, 0
	s_mulk_i32 s4, 0x380
	v_lshlrev_b32_e32 v1, 1, v14
	s_lshl_b64 s[6:7], s[4:5], 1
	v_mul_u32_u24_e32 v0, 0x1c0, v0
	v_lshlrev_b32_e32 v15, 3, v14
	s_wait_kmcnt 0x0
	s_add_nc_u64 s[0:1], s[0:1], s[6:7]
	s_clause 0x1
	global_load_b96 v[2:4], v1, s[0:1]
	global_load_u16 v5, v14, s[0:1] offset:12 scale_offset
	s_wait_xcnt 0x1
	v_mbcnt_lo_u32_b32 v1, -1, 0
	s_wait_xcnt 0x0
	s_lshl_b64 s[0:1], s[4:5], 3
	s_delay_alu instid0(SALU_CYCLE_1) | instskip(NEXT) | instid1(VALU_DEP_1)
	s_add_nc_u64 s[0:1], s[2:3], s[0:1]
	v_mul_u32_u24_e32 v6, 7, v1
	s_delay_alu instid0(VALU_DEP_1) | instskip(SKIP_1) | instid1(VALU_DEP_1)
	v_add_lshl_u32 v6, v6, v0, 1
	v_or_b32_e32 v0, v1, v0
	v_lshlrev_b32_e32 v0, 1, v0
	s_wait_loadcnt 0x1
	v_bfi_b32 v2, 0xffff, v2, v2
	ds_store_b96 v6, v[2:4]
	s_wait_loadcnt 0x0
	ds_store_b16 v6, v5 offset:12
	; wave barrier
	ds_load_i16 v1, v0
	ds_load_i16 v2, v0 offset:128
	ds_load_i16 v3, v0 offset:256
	ds_load_i16 v4, v0 offset:384
	ds_load_i16 v5, v0 offset:512
	ds_load_i16 v6, v0 offset:640
	ds_load_i16 v0, v0 offset:768
	s_wait_dscnt 0x6
	v_dual_add_nc_u32 v7, 1, v1 :: v_dual_lshlrev_b32 v1, 1, v1
	s_wait_dscnt 0x5
	v_dual_add_nc_u32 v8, 1, v2 :: v_dual_lshlrev_b32 v2, 1, v2
	;; [unrolled: 2-line block ×7, first 2 shown]
	v_cvt_f32_i32_e32 v0, v7
	v_cvt_f32_i32_e32 v5, v10
	v_cvt_f32_i32_e32 v4, v9
	v_cvt_f32_i32_e32 v7, v12
	v_cvt_f32_i32_e32 v6, v11
	v_cvt_f32_i32_e32 v3, v2
	v_cvt_f32_i32_e32 v2, v8
	v_cvt_f32_i32_e32 v9, v16
	v_cvt_f32_i32_e32 v8, v13
	v_cvt_f32_i32_e32 v11, v18
	v_cvt_f32_i32_e32 v10, v17
	v_cvt_f32_i32_e32 v1, v1
	v_cvt_f32_i32_e32 v13, v20
	v_cvt_f32_i32_e32 v12, v19
	s_clause 0x3
	global_store_b128 v15, v[4:7], s[0:1] offset:16
	global_store_b128 v15, v[8:11], s[0:1] offset:32
	global_store_b128 v15, v[0:3], s[0:1]
	global_store_b64 v14, v[12:13], s[0:1] offset:48 scale_offset
	s_endpgm
	.section	.rodata,"a",@progbits
	.p2align	6, 0x0
	.amdhsa_kernel _Z30blocked_to_warp_striped_kernelIs5dummyIfELj896ELj7EEvPT_PT0_
		.amdhsa_group_segment_fixed_size 1792
		.amdhsa_private_segment_fixed_size 0
		.amdhsa_kernarg_size 16
		.amdhsa_user_sgpr_count 2
		.amdhsa_user_sgpr_dispatch_ptr 0
		.amdhsa_user_sgpr_queue_ptr 0
		.amdhsa_user_sgpr_kernarg_segment_ptr 1
		.amdhsa_user_sgpr_dispatch_id 0
		.amdhsa_user_sgpr_kernarg_preload_length 0
		.amdhsa_user_sgpr_kernarg_preload_offset 0
		.amdhsa_user_sgpr_private_segment_size 0
		.amdhsa_wavefront_size32 1
		.amdhsa_uses_dynamic_stack 0
		.amdhsa_enable_private_segment 0
		.amdhsa_system_sgpr_workgroup_id_x 1
		.amdhsa_system_sgpr_workgroup_id_y 0
		.amdhsa_system_sgpr_workgroup_id_z 0
		.amdhsa_system_sgpr_workgroup_info 0
		.amdhsa_system_vgpr_workitem_id 0
		.amdhsa_next_free_vgpr 21
		.amdhsa_next_free_sgpr 8
		.amdhsa_named_barrier_count 0
		.amdhsa_reserve_vcc 0
		.amdhsa_float_round_mode_32 0
		.amdhsa_float_round_mode_16_64 0
		.amdhsa_float_denorm_mode_32 3
		.amdhsa_float_denorm_mode_16_64 3
		.amdhsa_fp16_overflow 0
		.amdhsa_memory_ordered 1
		.amdhsa_forward_progress 1
		.amdhsa_inst_pref_size 4
		.amdhsa_round_robin_scheduling 0
		.amdhsa_exception_fp_ieee_invalid_op 0
		.amdhsa_exception_fp_denorm_src 0
		.amdhsa_exception_fp_ieee_div_zero 0
		.amdhsa_exception_fp_ieee_overflow 0
		.amdhsa_exception_fp_ieee_underflow 0
		.amdhsa_exception_fp_ieee_inexact 0
		.amdhsa_exception_int_div_zero 0
	.end_amdhsa_kernel
	.section	.text._Z30blocked_to_warp_striped_kernelIs5dummyIfELj896ELj7EEvPT_PT0_,"axG",@progbits,_Z30blocked_to_warp_striped_kernelIs5dummyIfELj896ELj7EEvPT_PT0_,comdat
.Lfunc_end45:
	.size	_Z30blocked_to_warp_striped_kernelIs5dummyIfELj896ELj7EEvPT_PT0_, .Lfunc_end45-_Z30blocked_to_warp_striped_kernelIs5dummyIfELj896ELj7EEvPT_PT0_
                                        ; -- End function
	.set _Z30blocked_to_warp_striped_kernelIs5dummyIfELj896ELj7EEvPT_PT0_.num_vgpr, 21
	.set _Z30blocked_to_warp_striped_kernelIs5dummyIfELj896ELj7EEvPT_PT0_.num_agpr, 0
	.set _Z30blocked_to_warp_striped_kernelIs5dummyIfELj896ELj7EEvPT_PT0_.numbered_sgpr, 8
	.set _Z30blocked_to_warp_striped_kernelIs5dummyIfELj896ELj7EEvPT_PT0_.num_named_barrier, 0
	.set _Z30blocked_to_warp_striped_kernelIs5dummyIfELj896ELj7EEvPT_PT0_.private_seg_size, 0
	.set _Z30blocked_to_warp_striped_kernelIs5dummyIfELj896ELj7EEvPT_PT0_.uses_vcc, 0
	.set _Z30blocked_to_warp_striped_kernelIs5dummyIfELj896ELj7EEvPT_PT0_.uses_flat_scratch, 0
	.set _Z30blocked_to_warp_striped_kernelIs5dummyIfELj896ELj7EEvPT_PT0_.has_dyn_sized_stack, 0
	.set _Z30blocked_to_warp_striped_kernelIs5dummyIfELj896ELj7EEvPT_PT0_.has_recursion, 0
	.set _Z30blocked_to_warp_striped_kernelIs5dummyIfELj896ELj7EEvPT_PT0_.has_indirect_call, 0
	.section	.AMDGPU.csdata,"",@progbits
; Kernel info:
; codeLenInByte = 484
; TotalNumSgprs: 8
; NumVgprs: 21
; ScratchSize: 0
; MemoryBound: 0
; FloatMode: 240
; IeeeMode: 1
; LDSByteSize: 1792 bytes/workgroup (compile time only)
; SGPRBlocks: 0
; VGPRBlocks: 1
; NumSGPRsForWavesPerEU: 8
; NumVGPRsForWavesPerEU: 21
; NamedBarCnt: 0
; Occupancy: 16
; WaveLimiterHint : 0
; COMPUTE_PGM_RSRC2:SCRATCH_EN: 0
; COMPUTE_PGM_RSRC2:USER_SGPR: 2
; COMPUTE_PGM_RSRC2:TRAP_HANDLER: 0
; COMPUTE_PGM_RSRC2:TGID_X_EN: 1
; COMPUTE_PGM_RSRC2:TGID_Y_EN: 0
; COMPUTE_PGM_RSRC2:TGID_Z_EN: 0
; COMPUTE_PGM_RSRC2:TIDIG_COMP_CNT: 0
	.section	.text._Z30blocked_to_warp_striped_kernelIiiLj2560ELj5EEvPT_PT0_,"axG",@progbits,_Z30blocked_to_warp_striped_kernelIiiLj2560ELj5EEvPT_PT0_,comdat
	.protected	_Z30blocked_to_warp_striped_kernelIiiLj2560ELj5EEvPT_PT0_ ; -- Begin function _Z30blocked_to_warp_striped_kernelIiiLj2560ELj5EEvPT_PT0_
	.globl	_Z30blocked_to_warp_striped_kernelIiiLj2560ELj5EEvPT_PT0_
	.p2align	8
	.type	_Z30blocked_to_warp_striped_kernelIiiLj2560ELj5EEvPT_PT0_,@function
_Z30blocked_to_warp_striped_kernelIiiLj2560ELj5EEvPT_PT0_: ; @_Z30blocked_to_warp_striped_kernelIiiLj2560ELj5EEvPT_PT0_
; %bb.0:
	s_load_b128 s[0:3], s[0:1], 0x0
	s_bfe_u32 s4, ttmp6, 0x4000c
	s_and_b32 s5, ttmp6, 15
	s_add_co_i32 s4, s4, 1
	s_getreg_b32 s6, hwreg(HW_REG_IB_STS2, 6, 4)
	s_mul_i32 s4, ttmp9, s4
	v_mul_u32_u24_e32 v6, 5, v0
	s_add_co_i32 s5, s5, s4
	s_cmp_eq_u32 s6, 0
	v_lshrrev_b32_e32 v0, 6, v0
	s_cselect_b32 s4, ttmp9, s5
	s_mov_b32 s5, 0
	s_mulk_i32 s4, 0xa00
	v_lshlrev_b32_e32 v7, 2, v6
	s_lshl_b64 s[4:5], s[4:5], 2
	v_mbcnt_lo_u32_b32 v8, -1, 0
	v_mul_u32_u24_e32 v0, 0x140, v0
	s_delay_alu instid0(VALU_DEP_2)
	v_mul_u32_u24_e32 v9, 5, v8
	s_wait_kmcnt 0x0
	s_add_nc_u64 s[0:1], s[0:1], s[4:5]
	s_clause 0x1
	global_load_b128 v[2:5], v7, s[0:1]
	global_load_b32 v1, v6, s[0:1] offset:16 scale_offset
	v_or_b32_e32 v8, v8, v0
	v_add_lshl_u32 v0, v9, v0, 2
	s_wait_xcnt 0x0
	s_add_nc_u64 s[0:1], s[2:3], s[4:5]
	s_wait_loadcnt 0x1
	ds_store_2addr_b32 v0, v2, v3 offset1:1
	ds_store_2addr_b32 v0, v4, v5 offset0:2 offset1:3
	s_wait_loadcnt 0x0
	ds_store_b32 v0, v1 offset:16
	v_lshlrev_b32_e32 v8, 2, v8
	; wave barrier
	ds_load_2addr_stride64_b32 v[0:1], v8 offset1:1
	ds_load_2addr_stride64_b32 v[2:3], v8 offset0:2 offset1:3
	ds_load_b32 v4, v8 offset:1024
	s_wait_dscnt 0x1
	global_store_b128 v7, v[0:3], s[0:1]
	s_wait_dscnt 0x0
	global_store_b32 v6, v4, s[0:1] offset:16 scale_offset
	s_endpgm
	.section	.rodata,"a",@progbits
	.p2align	6, 0x0
	.amdhsa_kernel _Z30blocked_to_warp_striped_kernelIiiLj2560ELj5EEvPT_PT0_
		.amdhsa_group_segment_fixed_size 10240
		.amdhsa_private_segment_fixed_size 0
		.amdhsa_kernarg_size 16
		.amdhsa_user_sgpr_count 2
		.amdhsa_user_sgpr_dispatch_ptr 0
		.amdhsa_user_sgpr_queue_ptr 0
		.amdhsa_user_sgpr_kernarg_segment_ptr 1
		.amdhsa_user_sgpr_dispatch_id 0
		.amdhsa_user_sgpr_kernarg_preload_length 0
		.amdhsa_user_sgpr_kernarg_preload_offset 0
		.amdhsa_user_sgpr_private_segment_size 0
		.amdhsa_wavefront_size32 1
		.amdhsa_uses_dynamic_stack 0
		.amdhsa_enable_private_segment 0
		.amdhsa_system_sgpr_workgroup_id_x 1
		.amdhsa_system_sgpr_workgroup_id_y 0
		.amdhsa_system_sgpr_workgroup_id_z 0
		.amdhsa_system_sgpr_workgroup_info 0
		.amdhsa_system_vgpr_workitem_id 0
		.amdhsa_next_free_vgpr 10
		.amdhsa_next_free_sgpr 7
		.amdhsa_named_barrier_count 0
		.amdhsa_reserve_vcc 0
		.amdhsa_float_round_mode_32 0
		.amdhsa_float_round_mode_16_64 0
		.amdhsa_float_denorm_mode_32 3
		.amdhsa_float_denorm_mode_16_64 3
		.amdhsa_fp16_overflow 0
		.amdhsa_memory_ordered 1
		.amdhsa_forward_progress 1
		.amdhsa_inst_pref_size 2
		.amdhsa_round_robin_scheduling 0
		.amdhsa_exception_fp_ieee_invalid_op 0
		.amdhsa_exception_fp_denorm_src 0
		.amdhsa_exception_fp_ieee_div_zero 0
		.amdhsa_exception_fp_ieee_overflow 0
		.amdhsa_exception_fp_ieee_underflow 0
		.amdhsa_exception_fp_ieee_inexact 0
		.amdhsa_exception_int_div_zero 0
	.end_amdhsa_kernel
	.section	.text._Z30blocked_to_warp_striped_kernelIiiLj2560ELj5EEvPT_PT0_,"axG",@progbits,_Z30blocked_to_warp_striped_kernelIiiLj2560ELj5EEvPT_PT0_,comdat
.Lfunc_end46:
	.size	_Z30blocked_to_warp_striped_kernelIiiLj2560ELj5EEvPT_PT0_, .Lfunc_end46-_Z30blocked_to_warp_striped_kernelIiiLj2560ELj5EEvPT_PT0_
                                        ; -- End function
	.set _Z30blocked_to_warp_striped_kernelIiiLj2560ELj5EEvPT_PT0_.num_vgpr, 10
	.set _Z30blocked_to_warp_striped_kernelIiiLj2560ELj5EEvPT_PT0_.num_agpr, 0
	.set _Z30blocked_to_warp_striped_kernelIiiLj2560ELj5EEvPT_PT0_.numbered_sgpr, 7
	.set _Z30blocked_to_warp_striped_kernelIiiLj2560ELj5EEvPT_PT0_.num_named_barrier, 0
	.set _Z30blocked_to_warp_striped_kernelIiiLj2560ELj5EEvPT_PT0_.private_seg_size, 0
	.set _Z30blocked_to_warp_striped_kernelIiiLj2560ELj5EEvPT_PT0_.uses_vcc, 0
	.set _Z30blocked_to_warp_striped_kernelIiiLj2560ELj5EEvPT_PT0_.uses_flat_scratch, 0
	.set _Z30blocked_to_warp_striped_kernelIiiLj2560ELj5EEvPT_PT0_.has_dyn_sized_stack, 0
	.set _Z30blocked_to_warp_striped_kernelIiiLj2560ELj5EEvPT_PT0_.has_recursion, 0
	.set _Z30blocked_to_warp_striped_kernelIiiLj2560ELj5EEvPT_PT0_.has_indirect_call, 0
	.section	.AMDGPU.csdata,"",@progbits
; Kernel info:
; codeLenInByte = 244
; TotalNumSgprs: 7
; NumVgprs: 10
; ScratchSize: 0
; MemoryBound: 0
; FloatMode: 240
; IeeeMode: 1
; LDSByteSize: 10240 bytes/workgroup (compile time only)
; SGPRBlocks: 0
; VGPRBlocks: 0
; NumSGPRsForWavesPerEU: 7
; NumVGPRsForWavesPerEU: 10
; NamedBarCnt: 0
; Occupancy: 16
; WaveLimiterHint : 0
; COMPUTE_PGM_RSRC2:SCRATCH_EN: 0
; COMPUTE_PGM_RSRC2:USER_SGPR: 2
; COMPUTE_PGM_RSRC2:TRAP_HANDLER: 0
; COMPUTE_PGM_RSRC2:TGID_X_EN: 1
; COMPUTE_PGM_RSRC2:TGID_Y_EN: 0
; COMPUTE_PGM_RSRC2:TGID_Z_EN: 0
; COMPUTE_PGM_RSRC2:TIDIG_COMP_CNT: 0
	.section	.text._Z30blocked_to_warp_striped_kernelIxxLj1024ELj4EEvPT_PT0_,"axG",@progbits,_Z30blocked_to_warp_striped_kernelIxxLj1024ELj4EEvPT_PT0_,comdat
	.protected	_Z30blocked_to_warp_striped_kernelIxxLj1024ELj4EEvPT_PT0_ ; -- Begin function _Z30blocked_to_warp_striped_kernelIxxLj1024ELj4EEvPT_PT0_
	.globl	_Z30blocked_to_warp_striped_kernelIxxLj1024ELj4EEvPT_PT0_
	.p2align	8
	.type	_Z30blocked_to_warp_striped_kernelIxxLj1024ELj4EEvPT_PT0_,@function
_Z30blocked_to_warp_striped_kernelIxxLj1024ELj4EEvPT_PT0_: ; @_Z30blocked_to_warp_striped_kernelIxxLj1024ELj4EEvPT_PT0_
; %bb.0:
	s_load_b128 s[0:3], s[0:1], 0x0
	s_bfe_u32 s4, ttmp6, 0x4000c
	s_and_b32 s5, ttmp6, 15
	s_add_co_i32 s4, s4, 1
	s_getreg_b32 s6, hwreg(HW_REG_IB_STS2, 6, 4)
	s_mul_i32 s4, ttmp9, s4
	v_dual_lshlrev_b32 v10, 5, v0 :: v_dual_lshlrev_b32 v11, 2, v0
	s_add_co_i32 s5, s5, s4
	s_cmp_eq_u32 s6, 0
	v_mbcnt_lo_u32_b32 v1, -1, 0
	s_cselect_b32 s4, ttmp9, s5
	s_mov_b32 s5, 0
	s_lshl_b32 s4, s4, 10
	v_and_b32_e32 v11, 0x700, v11
	s_lshl_b64 s[4:5], s[4:5], 3
	v_and_or_b32 v0, 0x1c0, v0, v1
	s_delay_alu instid0(VALU_DEP_2) | instskip(SKIP_2) | instid1(VALU_DEP_2)
	v_or_b32_e32 v1, v1, v11
	s_wait_kmcnt 0x0
	s_add_nc_u64 s[0:1], s[0:1], s[4:5]
	v_lshlrev_b32_e32 v12, 2, v0
	s_clause 0x1
	global_load_b128 v[2:5], v10, s[0:1]
	global_load_b128 v[6:9], v10, s[0:1] offset:16
	v_or_b32_e32 v13, 64, v11
	v_or_b32_e32 v14, 0x80, v11
	;; [unrolled: 1-line block ×3, first 2 shown]
	v_bfe_u32 v0, v0, 3, 27
	v_dual_lshrrev_b32 v11, 2, v11 :: v_dual_lshlrev_b32 v1, 3, v1
	s_delay_alu instid0(VALU_DEP_4) | instskip(NEXT) | instid1(VALU_DEP_4)
	v_dual_lshrrev_b32 v14, 2, v14 :: v_dual_lshrrev_b32 v13, 2, v13
	v_lshrrev_b32_e32 v15, 2, v15
	s_delay_alu instid0(VALU_DEP_4) | instskip(NEXT) | instid1(VALU_DEP_4)
	v_add_lshl_u32 v0, v0, v12, 3
	v_add_nc_u32_e32 v11, v11, v1
	s_wait_xcnt 0x0
	s_add_nc_u64 s[0:1], s[2:3], s[4:5]
	v_dual_add_nc_u32 v12, v13, v1 :: v_dual_add_nc_u32 v13, v14, v1
	v_add_nc_u32_e32 v14, v15, v1
	s_wait_loadcnt 0x1
	ds_store_2addr_b64 v0, v[2:3], v[4:5] offset1:1
	s_wait_loadcnt 0x0
	ds_store_2addr_b64 v0, v[6:7], v[8:9] offset0:2 offset1:3
	; wave barrier
	ds_load_b64 v[0:1], v11
	ds_load_b64 v[2:3], v12 offset:512
	ds_load_b64 v[4:5], v13 offset:1024
	;; [unrolled: 1-line block ×3, first 2 shown]
	s_wait_dscnt 0x2
	global_store_b128 v10, v[0:3], s[0:1]
	s_wait_dscnt 0x0
	global_store_b128 v10, v[4:7], s[0:1] offset:16
	s_endpgm
	.section	.rodata,"a",@progbits
	.p2align	6, 0x0
	.amdhsa_kernel _Z30blocked_to_warp_striped_kernelIxxLj1024ELj4EEvPT_PT0_
		.amdhsa_group_segment_fixed_size 8448
		.amdhsa_private_segment_fixed_size 0
		.amdhsa_kernarg_size 16
		.amdhsa_user_sgpr_count 2
		.amdhsa_user_sgpr_dispatch_ptr 0
		.amdhsa_user_sgpr_queue_ptr 0
		.amdhsa_user_sgpr_kernarg_segment_ptr 1
		.amdhsa_user_sgpr_dispatch_id 0
		.amdhsa_user_sgpr_kernarg_preload_length 0
		.amdhsa_user_sgpr_kernarg_preload_offset 0
		.amdhsa_user_sgpr_private_segment_size 0
		.amdhsa_wavefront_size32 1
		.amdhsa_uses_dynamic_stack 0
		.amdhsa_enable_private_segment 0
		.amdhsa_system_sgpr_workgroup_id_x 1
		.amdhsa_system_sgpr_workgroup_id_y 0
		.amdhsa_system_sgpr_workgroup_id_z 0
		.amdhsa_system_sgpr_workgroup_info 0
		.amdhsa_system_vgpr_workitem_id 0
		.amdhsa_next_free_vgpr 16
		.amdhsa_next_free_sgpr 7
		.amdhsa_named_barrier_count 0
		.amdhsa_reserve_vcc 0
		.amdhsa_float_round_mode_32 0
		.amdhsa_float_round_mode_16_64 0
		.amdhsa_float_denorm_mode_32 3
		.amdhsa_float_denorm_mode_16_64 3
		.amdhsa_fp16_overflow 0
		.amdhsa_memory_ordered 1
		.amdhsa_forward_progress 1
		.amdhsa_inst_pref_size 3
		.amdhsa_round_robin_scheduling 0
		.amdhsa_exception_fp_ieee_invalid_op 0
		.amdhsa_exception_fp_denorm_src 0
		.amdhsa_exception_fp_ieee_div_zero 0
		.amdhsa_exception_fp_ieee_overflow 0
		.amdhsa_exception_fp_ieee_underflow 0
		.amdhsa_exception_fp_ieee_inexact 0
		.amdhsa_exception_int_div_zero 0
	.end_amdhsa_kernel
	.section	.text._Z30blocked_to_warp_striped_kernelIxxLj1024ELj4EEvPT_PT0_,"axG",@progbits,_Z30blocked_to_warp_striped_kernelIxxLj1024ELj4EEvPT_PT0_,comdat
.Lfunc_end47:
	.size	_Z30blocked_to_warp_striped_kernelIxxLj1024ELj4EEvPT_PT0_, .Lfunc_end47-_Z30blocked_to_warp_striped_kernelIxxLj1024ELj4EEvPT_PT0_
                                        ; -- End function
	.set _Z30blocked_to_warp_striped_kernelIxxLj1024ELj4EEvPT_PT0_.num_vgpr, 16
	.set _Z30blocked_to_warp_striped_kernelIxxLj1024ELj4EEvPT_PT0_.num_agpr, 0
	.set _Z30blocked_to_warp_striped_kernelIxxLj1024ELj4EEvPT_PT0_.numbered_sgpr, 7
	.set _Z30blocked_to_warp_striped_kernelIxxLj1024ELj4EEvPT_PT0_.num_named_barrier, 0
	.set _Z30blocked_to_warp_striped_kernelIxxLj1024ELj4EEvPT_PT0_.private_seg_size, 0
	.set _Z30blocked_to_warp_striped_kernelIxxLj1024ELj4EEvPT_PT0_.uses_vcc, 0
	.set _Z30blocked_to_warp_striped_kernelIxxLj1024ELj4EEvPT_PT0_.uses_flat_scratch, 0
	.set _Z30blocked_to_warp_striped_kernelIxxLj1024ELj4EEvPT_PT0_.has_dyn_sized_stack, 0
	.set _Z30blocked_to_warp_striped_kernelIxxLj1024ELj4EEvPT_PT0_.has_recursion, 0
	.set _Z30blocked_to_warp_striped_kernelIxxLj1024ELj4EEvPT_PT0_.has_indirect_call, 0
	.section	.AMDGPU.csdata,"",@progbits
; Kernel info:
; codeLenInByte = 336
; TotalNumSgprs: 7
; NumVgprs: 16
; ScratchSize: 0
; MemoryBound: 0
; FloatMode: 240
; IeeeMode: 1
; LDSByteSize: 8448 bytes/workgroup (compile time only)
; SGPRBlocks: 0
; VGPRBlocks: 0
; NumSGPRsForWavesPerEU: 7
; NumVGPRsForWavesPerEU: 16
; NamedBarCnt: 0
; Occupancy: 16
; WaveLimiterHint : 0
; COMPUTE_PGM_RSRC2:SCRATCH_EN: 0
; COMPUTE_PGM_RSRC2:USER_SGPR: 2
; COMPUTE_PGM_RSRC2:TRAP_HANDLER: 0
; COMPUTE_PGM_RSRC2:TGID_X_EN: 1
; COMPUTE_PGM_RSRC2:TGID_Y_EN: 0
; COMPUTE_PGM_RSRC2:TGID_Z_EN: 0
; COMPUTE_PGM_RSRC2:TIDIG_COMP_CNT: 0
	.section	.text._Z30blocked_to_warp_striped_kernelIiiLj128ELj2EEvPT_PT0_,"axG",@progbits,_Z30blocked_to_warp_striped_kernelIiiLj128ELj2EEvPT_PT0_,comdat
	.protected	_Z30blocked_to_warp_striped_kernelIiiLj128ELj2EEvPT_PT0_ ; -- Begin function _Z30blocked_to_warp_striped_kernelIiiLj128ELj2EEvPT_PT0_
	.globl	_Z30blocked_to_warp_striped_kernelIiiLj128ELj2EEvPT_PT0_
	.p2align	8
	.type	_Z30blocked_to_warp_striped_kernelIiiLj128ELj2EEvPT_PT0_,@function
_Z30blocked_to_warp_striped_kernelIiiLj128ELj2EEvPT_PT0_: ; @_Z30blocked_to_warp_striped_kernelIiiLj128ELj2EEvPT_PT0_
; %bb.0:
	s_load_b128 s[0:3], s[0:1], 0x0
	s_bfe_u32 s4, ttmp6, 0x4000c
	s_and_b32 s5, ttmp6, 15
	s_add_co_i32 s4, s4, 1
	s_getreg_b32 s6, hwreg(HW_REG_IB_STS2, 6, 4)
	s_mul_i32 s4, ttmp9, s4
	v_mbcnt_lo_u32_b32 v1, -1, 0
	s_add_co_i32 s5, s5, s4
	s_cmp_eq_u32 s6, 0
	s_cselect_b32 s4, ttmp9, s5
	s_mov_b32 s5, 0
	s_lshl_b32 s4, s4, 7
	v_and_or_b32 v5, 0x1c0, v0, v1
	s_lshl_b64 s[4:5], s[4:5], 2
	s_delay_alu instid0(VALU_DEP_1) | instskip(NEXT) | instid1(VALU_DEP_1)
	v_dual_lshlrev_b32 v4, 1, v0 :: v_dual_lshrrev_b32 v6, 2, v5
	v_and_b32_e32 v4, 0x380, v4
	s_wait_kmcnt 0x0
	s_add_nc_u64 s[0:1], s[0:1], s[4:5]
	global_load_b64 v[2:3], v0, s[0:1] scale_offset
	v_and_b32_e32 v6, 0x74, v6
	v_or_b32_e32 v1, v1, v4
	v_dual_lshrrev_b32 v4, 3, v4 :: v_dual_bitop2_b32 v7, 64, v4 bitop3:0x54
	s_wait_xcnt 0x0
	s_add_nc_u64 s[0:1], s[2:3], s[4:5]
	v_lshl_add_u32 v5, v5, 3, v6
	s_delay_alu instid0(VALU_DEP_2) | instskip(NEXT) | instid1(VALU_DEP_1)
	v_dual_lshlrev_b32 v1, 2, v1 :: v_dual_lshrrev_b32 v7, 3, v7
	v_dual_add_nc_u32 v4, v4, v1 :: v_dual_add_nc_u32 v1, v7, v1
	s_wait_loadcnt 0x0
	ds_store_2addr_b32 v5, v2, v3 offset1:1
	; wave barrier
	ds_load_b32 v2, v4
	ds_load_b32 v3, v1 offset:256
	s_wait_dscnt 0x0
	global_store_b64 v0, v[2:3], s[0:1] scale_offset
	s_endpgm
	.section	.rodata,"a",@progbits
	.p2align	6, 0x0
	.amdhsa_kernel _Z30blocked_to_warp_striped_kernelIiiLj128ELj2EEvPT_PT0_
		.amdhsa_group_segment_fixed_size 528
		.amdhsa_private_segment_fixed_size 0
		.amdhsa_kernarg_size 16
		.amdhsa_user_sgpr_count 2
		.amdhsa_user_sgpr_dispatch_ptr 0
		.amdhsa_user_sgpr_queue_ptr 0
		.amdhsa_user_sgpr_kernarg_segment_ptr 1
		.amdhsa_user_sgpr_dispatch_id 0
		.amdhsa_user_sgpr_kernarg_preload_length 0
		.amdhsa_user_sgpr_kernarg_preload_offset 0
		.amdhsa_user_sgpr_private_segment_size 0
		.amdhsa_wavefront_size32 1
		.amdhsa_uses_dynamic_stack 0
		.amdhsa_enable_private_segment 0
		.amdhsa_system_sgpr_workgroup_id_x 1
		.amdhsa_system_sgpr_workgroup_id_y 0
		.amdhsa_system_sgpr_workgroup_id_z 0
		.amdhsa_system_sgpr_workgroup_info 0
		.amdhsa_system_vgpr_workitem_id 0
		.amdhsa_next_free_vgpr 8
		.amdhsa_next_free_sgpr 7
		.amdhsa_named_barrier_count 0
		.amdhsa_reserve_vcc 0
		.amdhsa_float_round_mode_32 0
		.amdhsa_float_round_mode_16_64 0
		.amdhsa_float_denorm_mode_32 3
		.amdhsa_float_denorm_mode_16_64 3
		.amdhsa_fp16_overflow 0
		.amdhsa_memory_ordered 1
		.amdhsa_forward_progress 1
		.amdhsa_inst_pref_size 2
		.amdhsa_round_robin_scheduling 0
		.amdhsa_exception_fp_ieee_invalid_op 0
		.amdhsa_exception_fp_denorm_src 0
		.amdhsa_exception_fp_ieee_div_zero 0
		.amdhsa_exception_fp_ieee_overflow 0
		.amdhsa_exception_fp_ieee_underflow 0
		.amdhsa_exception_fp_ieee_inexact 0
		.amdhsa_exception_int_div_zero 0
	.end_amdhsa_kernel
	.section	.text._Z30blocked_to_warp_striped_kernelIiiLj128ELj2EEvPT_PT0_,"axG",@progbits,_Z30blocked_to_warp_striped_kernelIiiLj128ELj2EEvPT_PT0_,comdat
.Lfunc_end48:
	.size	_Z30blocked_to_warp_striped_kernelIiiLj128ELj2EEvPT_PT0_, .Lfunc_end48-_Z30blocked_to_warp_striped_kernelIiiLj128ELj2EEvPT_PT0_
                                        ; -- End function
	.set _Z30blocked_to_warp_striped_kernelIiiLj128ELj2EEvPT_PT0_.num_vgpr, 8
	.set _Z30blocked_to_warp_striped_kernelIiiLj128ELj2EEvPT_PT0_.num_agpr, 0
	.set _Z30blocked_to_warp_striped_kernelIiiLj128ELj2EEvPT_PT0_.numbered_sgpr, 7
	.set _Z30blocked_to_warp_striped_kernelIiiLj128ELj2EEvPT_PT0_.num_named_barrier, 0
	.set _Z30blocked_to_warp_striped_kernelIiiLj128ELj2EEvPT_PT0_.private_seg_size, 0
	.set _Z30blocked_to_warp_striped_kernelIiiLj128ELj2EEvPT_PT0_.uses_vcc, 0
	.set _Z30blocked_to_warp_striped_kernelIiiLj128ELj2EEvPT_PT0_.uses_flat_scratch, 0
	.set _Z30blocked_to_warp_striped_kernelIiiLj128ELj2EEvPT_PT0_.has_dyn_sized_stack, 0
	.set _Z30blocked_to_warp_striped_kernelIiiLj128ELj2EEvPT_PT0_.has_recursion, 0
	.set _Z30blocked_to_warp_striped_kernelIiiLj128ELj2EEvPT_PT0_.has_indirect_call, 0
	.section	.AMDGPU.csdata,"",@progbits
; Kernel info:
; codeLenInByte = 236
; TotalNumSgprs: 7
; NumVgprs: 8
; ScratchSize: 0
; MemoryBound: 0
; FloatMode: 240
; IeeeMode: 1
; LDSByteSize: 528 bytes/workgroup (compile time only)
; SGPRBlocks: 0
; VGPRBlocks: 0
; NumSGPRsForWavesPerEU: 7
; NumVGPRsForWavesPerEU: 8
; NamedBarCnt: 0
; Occupancy: 16
; WaveLimiterHint : 0
; COMPUTE_PGM_RSRC2:SCRATCH_EN: 0
; COMPUTE_PGM_RSRC2:USER_SGPR: 2
; COMPUTE_PGM_RSRC2:TRAP_HANDLER: 0
; COMPUTE_PGM_RSRC2:TGID_X_EN: 1
; COMPUTE_PGM_RSRC2:TGID_Y_EN: 0
; COMPUTE_PGM_RSRC2:TGID_Z_EN: 0
; COMPUTE_PGM_RSRC2:TIDIG_COMP_CNT: 0
	.section	.text._Z30blocked_to_warp_striped_kernelIxxLj512ELj1EEvPT_PT0_,"axG",@progbits,_Z30blocked_to_warp_striped_kernelIxxLj512ELj1EEvPT_PT0_,comdat
	.protected	_Z30blocked_to_warp_striped_kernelIxxLj512ELj1EEvPT_PT0_ ; -- Begin function _Z30blocked_to_warp_striped_kernelIxxLj512ELj1EEvPT_PT0_
	.globl	_Z30blocked_to_warp_striped_kernelIxxLj512ELj1EEvPT_PT0_
	.p2align	8
	.type	_Z30blocked_to_warp_striped_kernelIxxLj512ELj1EEvPT_PT0_,@function
_Z30blocked_to_warp_striped_kernelIxxLj512ELj1EEvPT_PT0_: ; @_Z30blocked_to_warp_striped_kernelIxxLj512ELj1EEvPT_PT0_
; %bb.0:
	s_load_b128 s[0:3], s[0:1], 0x0
	s_bfe_u32 s4, ttmp6, 0x4000c
	s_and_b32 s5, ttmp6, 15
	s_add_co_i32 s4, s4, 1
	s_getreg_b32 s6, hwreg(HW_REG_IB_STS2, 6, 4)
	s_mul_i32 s4, ttmp9, s4
	v_mbcnt_lo_u32_b32 v1, -1, 0
	s_add_co_i32 s5, s5, s4
	s_cmp_eq_u32 s6, 0
	s_cselect_b32 s4, ttmp9, s5
	s_mov_b32 s5, 0
	s_lshl_b32 s4, s4, 9
	v_and_or_b32 v1, 0x1c0, v0, v1
	s_lshl_b64 s[4:5], s[4:5], 3
	s_delay_alu instid0(VALU_DEP_1)
	v_lshlrev_b32_e32 v1, 3, v1
	s_wait_kmcnt 0x0
	s_add_nc_u64 s[0:1], s[0:1], s[4:5]
	global_load_b64 v[2:3], v0, s[0:1] scale_offset
	s_wait_xcnt 0x0
	s_add_nc_u64 s[0:1], s[2:3], s[4:5]
	s_wait_loadcnt 0x0
	ds_store_b64 v1, v[2:3]
	; wave barrier
	ds_load_b64 v[2:3], v1
	s_wait_dscnt 0x0
	global_store_b64 v0, v[2:3], s[0:1] scale_offset
	s_endpgm
	.section	.rodata,"a",@progbits
	.p2align	6, 0x0
	.amdhsa_kernel _Z30blocked_to_warp_striped_kernelIxxLj512ELj1EEvPT_PT0_
		.amdhsa_group_segment_fixed_size 4096
		.amdhsa_private_segment_fixed_size 0
		.amdhsa_kernarg_size 16
		.amdhsa_user_sgpr_count 2
		.amdhsa_user_sgpr_dispatch_ptr 0
		.amdhsa_user_sgpr_queue_ptr 0
		.amdhsa_user_sgpr_kernarg_segment_ptr 1
		.amdhsa_user_sgpr_dispatch_id 0
		.amdhsa_user_sgpr_kernarg_preload_length 0
		.amdhsa_user_sgpr_kernarg_preload_offset 0
		.amdhsa_user_sgpr_private_segment_size 0
		.amdhsa_wavefront_size32 1
		.amdhsa_uses_dynamic_stack 0
		.amdhsa_enable_private_segment 0
		.amdhsa_system_sgpr_workgroup_id_x 1
		.amdhsa_system_sgpr_workgroup_id_y 0
		.amdhsa_system_sgpr_workgroup_id_z 0
		.amdhsa_system_sgpr_workgroup_info 0
		.amdhsa_system_vgpr_workitem_id 0
		.amdhsa_next_free_vgpr 4
		.amdhsa_next_free_sgpr 7
		.amdhsa_named_barrier_count 0
		.amdhsa_reserve_vcc 0
		.amdhsa_float_round_mode_32 0
		.amdhsa_float_round_mode_16_64 0
		.amdhsa_float_denorm_mode_32 3
		.amdhsa_float_denorm_mode_16_64 3
		.amdhsa_fp16_overflow 0
		.amdhsa_memory_ordered 1
		.amdhsa_forward_progress 1
		.amdhsa_inst_pref_size 2
		.amdhsa_round_robin_scheduling 0
		.amdhsa_exception_fp_ieee_invalid_op 0
		.amdhsa_exception_fp_denorm_src 0
		.amdhsa_exception_fp_ieee_div_zero 0
		.amdhsa_exception_fp_ieee_overflow 0
		.amdhsa_exception_fp_ieee_underflow 0
		.amdhsa_exception_fp_ieee_inexact 0
		.amdhsa_exception_int_div_zero 0
	.end_amdhsa_kernel
	.section	.text._Z30blocked_to_warp_striped_kernelIxxLj512ELj1EEvPT_PT0_,"axG",@progbits,_Z30blocked_to_warp_striped_kernelIxxLj512ELj1EEvPT_PT0_,comdat
.Lfunc_end49:
	.size	_Z30blocked_to_warp_striped_kernelIxxLj512ELj1EEvPT_PT0_, .Lfunc_end49-_Z30blocked_to_warp_striped_kernelIxxLj512ELj1EEvPT_PT0_
                                        ; -- End function
	.set _Z30blocked_to_warp_striped_kernelIxxLj512ELj1EEvPT_PT0_.num_vgpr, 4
	.set _Z30blocked_to_warp_striped_kernelIxxLj512ELj1EEvPT_PT0_.num_agpr, 0
	.set _Z30blocked_to_warp_striped_kernelIxxLj512ELj1EEvPT_PT0_.numbered_sgpr, 7
	.set _Z30blocked_to_warp_striped_kernelIxxLj512ELj1EEvPT_PT0_.num_named_barrier, 0
	.set _Z30blocked_to_warp_striped_kernelIxxLj512ELj1EEvPT_PT0_.private_seg_size, 0
	.set _Z30blocked_to_warp_striped_kernelIxxLj512ELj1EEvPT_PT0_.uses_vcc, 0
	.set _Z30blocked_to_warp_striped_kernelIxxLj512ELj1EEvPT_PT0_.uses_flat_scratch, 0
	.set _Z30blocked_to_warp_striped_kernelIxxLj512ELj1EEvPT_PT0_.has_dyn_sized_stack, 0
	.set _Z30blocked_to_warp_striped_kernelIxxLj512ELj1EEvPT_PT0_.has_recursion, 0
	.set _Z30blocked_to_warp_striped_kernelIxxLj512ELj1EEvPT_PT0_.has_indirect_call, 0
	.section	.AMDGPU.csdata,"",@progbits
; Kernel info:
; codeLenInByte = 152
; TotalNumSgprs: 7
; NumVgprs: 4
; ScratchSize: 0
; MemoryBound: 0
; FloatMode: 240
; IeeeMode: 1
; LDSByteSize: 4096 bytes/workgroup (compile time only)
; SGPRBlocks: 0
; VGPRBlocks: 0
; NumSGPRsForWavesPerEU: 7
; NumVGPRsForWavesPerEU: 4
; NamedBarCnt: 0
; Occupancy: 16
; WaveLimiterHint : 0
; COMPUTE_PGM_RSRC2:SCRATCH_EN: 0
; COMPUTE_PGM_RSRC2:USER_SGPR: 2
; COMPUTE_PGM_RSRC2:TRAP_HANDLER: 0
; COMPUTE_PGM_RSRC2:TGID_X_EN: 1
; COMPUTE_PGM_RSRC2:TGID_Y_EN: 0
; COMPUTE_PGM_RSRC2:TGID_Z_EN: 0
; COMPUTE_PGM_RSRC2:TIDIG_COMP_CNT: 0
	.section	.text._Z30blocked_to_warp_striped_kernelIs5dummyIiELj256ELj1EEvPT_PT0_,"axG",@progbits,_Z30blocked_to_warp_striped_kernelIs5dummyIiELj256ELj1EEvPT_PT0_,comdat
	.protected	_Z30blocked_to_warp_striped_kernelIs5dummyIiELj256ELj1EEvPT_PT0_ ; -- Begin function _Z30blocked_to_warp_striped_kernelIs5dummyIiELj256ELj1EEvPT_PT0_
	.globl	_Z30blocked_to_warp_striped_kernelIs5dummyIiELj256ELj1EEvPT_PT0_
	.p2align	8
	.type	_Z30blocked_to_warp_striped_kernelIs5dummyIiELj256ELj1EEvPT_PT0_,@function
_Z30blocked_to_warp_striped_kernelIs5dummyIiELj256ELj1EEvPT_PT0_: ; @_Z30blocked_to_warp_striped_kernelIs5dummyIiELj256ELj1EEvPT_PT0_
; %bb.0:
	s_load_b128 s[0:3], s[0:1], 0x0
	s_bfe_u32 s4, ttmp6, 0x4000c
	s_and_b32 s5, ttmp6, 15
	s_add_co_i32 s4, s4, 1
	s_getreg_b32 s6, hwreg(HW_REG_IB_STS2, 6, 4)
	s_mul_i32 s4, ttmp9, s4
	v_mbcnt_lo_u32_b32 v2, -1, 0
	s_add_co_i32 s5, s5, s4
	s_cmp_eq_u32 s6, 0
	s_cselect_b32 s4, ttmp9, s5
	s_mov_b32 s5, 0
	s_lshl_b32 s4, s4, 8
	v_and_or_b32 v2, 0x1c0, v0, v2
	s_lshl_b64 s[6:7], s[4:5], 1
	s_delay_alu instid0(VALU_DEP_1)
	v_lshlrev_b32_e32 v2, 1, v2
	s_wait_kmcnt 0x0
	s_add_nc_u64 s[0:1], s[0:1], s[6:7]
	global_load_u16 v1, v0, s[0:1] scale_offset
	s_wait_xcnt 0x0
	s_lshl_b64 s[0:1], s[4:5], 3
	s_delay_alu instid0(SALU_CYCLE_1)
	s_add_nc_u64 s[0:1], s[2:3], s[0:1]
	s_wait_loadcnt 0x0
	ds_store_b16 v2, v1
	; wave barrier
	ds_load_i16 v1, v2
	s_wait_dscnt 0x0
	v_dual_lshlrev_b32 v3, 1, v1 :: v_dual_add_nc_u32 v2, 1, v1
	global_store_b64 v0, v[2:3], s[0:1] scale_offset
	s_endpgm
	.section	.rodata,"a",@progbits
	.p2align	6, 0x0
	.amdhsa_kernel _Z30blocked_to_warp_striped_kernelIs5dummyIiELj256ELj1EEvPT_PT0_
		.amdhsa_group_segment_fixed_size 512
		.amdhsa_private_segment_fixed_size 0
		.amdhsa_kernarg_size 16
		.amdhsa_user_sgpr_count 2
		.amdhsa_user_sgpr_dispatch_ptr 0
		.amdhsa_user_sgpr_queue_ptr 0
		.amdhsa_user_sgpr_kernarg_segment_ptr 1
		.amdhsa_user_sgpr_dispatch_id 0
		.amdhsa_user_sgpr_kernarg_preload_length 0
		.amdhsa_user_sgpr_kernarg_preload_offset 0
		.amdhsa_user_sgpr_private_segment_size 0
		.amdhsa_wavefront_size32 1
		.amdhsa_uses_dynamic_stack 0
		.amdhsa_enable_private_segment 0
		.amdhsa_system_sgpr_workgroup_id_x 1
		.amdhsa_system_sgpr_workgroup_id_y 0
		.amdhsa_system_sgpr_workgroup_id_z 0
		.amdhsa_system_sgpr_workgroup_info 0
		.amdhsa_system_vgpr_workitem_id 0
		.amdhsa_next_free_vgpr 4
		.amdhsa_next_free_sgpr 8
		.amdhsa_named_barrier_count 0
		.amdhsa_reserve_vcc 0
		.amdhsa_float_round_mode_32 0
		.amdhsa_float_round_mode_16_64 0
		.amdhsa_float_denorm_mode_32 3
		.amdhsa_float_denorm_mode_16_64 3
		.amdhsa_fp16_overflow 0
		.amdhsa_memory_ordered 1
		.amdhsa_forward_progress 1
		.amdhsa_inst_pref_size 2
		.amdhsa_round_robin_scheduling 0
		.amdhsa_exception_fp_ieee_invalid_op 0
		.amdhsa_exception_fp_denorm_src 0
		.amdhsa_exception_fp_ieee_div_zero 0
		.amdhsa_exception_fp_ieee_overflow 0
		.amdhsa_exception_fp_ieee_underflow 0
		.amdhsa_exception_fp_ieee_inexact 0
		.amdhsa_exception_int_div_zero 0
	.end_amdhsa_kernel
	.section	.text._Z30blocked_to_warp_striped_kernelIs5dummyIiELj256ELj1EEvPT_PT0_,"axG",@progbits,_Z30blocked_to_warp_striped_kernelIs5dummyIiELj256ELj1EEvPT_PT0_,comdat
.Lfunc_end50:
	.size	_Z30blocked_to_warp_striped_kernelIs5dummyIiELj256ELj1EEvPT_PT0_, .Lfunc_end50-_Z30blocked_to_warp_striped_kernelIs5dummyIiELj256ELj1EEvPT_PT0_
                                        ; -- End function
	.set _Z30blocked_to_warp_striped_kernelIs5dummyIiELj256ELj1EEvPT_PT0_.num_vgpr, 4
	.set _Z30blocked_to_warp_striped_kernelIs5dummyIiELj256ELj1EEvPT_PT0_.num_agpr, 0
	.set _Z30blocked_to_warp_striped_kernelIs5dummyIiELj256ELj1EEvPT_PT0_.numbered_sgpr, 8
	.set _Z30blocked_to_warp_striped_kernelIs5dummyIiELj256ELj1EEvPT_PT0_.num_named_barrier, 0
	.set _Z30blocked_to_warp_striped_kernelIs5dummyIiELj256ELj1EEvPT_PT0_.private_seg_size, 0
	.set _Z30blocked_to_warp_striped_kernelIs5dummyIiELj256ELj1EEvPT_PT0_.uses_vcc, 0
	.set _Z30blocked_to_warp_striped_kernelIs5dummyIiELj256ELj1EEvPT_PT0_.uses_flat_scratch, 0
	.set _Z30blocked_to_warp_striped_kernelIs5dummyIiELj256ELj1EEvPT_PT0_.has_dyn_sized_stack, 0
	.set _Z30blocked_to_warp_striped_kernelIs5dummyIiELj256ELj1EEvPT_PT0_.has_recursion, 0
	.set _Z30blocked_to_warp_striped_kernelIs5dummyIiELj256ELj1EEvPT_PT0_.has_indirect_call, 0
	.section	.AMDGPU.csdata,"",@progbits
; Kernel info:
; codeLenInByte = 172
; TotalNumSgprs: 8
; NumVgprs: 4
; ScratchSize: 0
; MemoryBound: 0
; FloatMode: 240
; IeeeMode: 1
; LDSByteSize: 512 bytes/workgroup (compile time only)
; SGPRBlocks: 0
; VGPRBlocks: 0
; NumSGPRsForWavesPerEU: 8
; NumVGPRsForWavesPerEU: 4
; NamedBarCnt: 0
; Occupancy: 16
; WaveLimiterHint : 0
; COMPUTE_PGM_RSRC2:SCRATCH_EN: 0
; COMPUTE_PGM_RSRC2:USER_SGPR: 2
; COMPUTE_PGM_RSRC2:TRAP_HANDLER: 0
; COMPUTE_PGM_RSRC2:TGID_X_EN: 1
; COMPUTE_PGM_RSRC2:TGID_Y_EN: 0
; COMPUTE_PGM_RSRC2:TGID_Z_EN: 0
; COMPUTE_PGM_RSRC2:TIDIG_COMP_CNT: 0
	.section	.text._Z30blocked_to_warp_striped_kernelIyyLj128ELj1EEvPT_PT0_,"axG",@progbits,_Z30blocked_to_warp_striped_kernelIyyLj128ELj1EEvPT_PT0_,comdat
	.protected	_Z30blocked_to_warp_striped_kernelIyyLj128ELj1EEvPT_PT0_ ; -- Begin function _Z30blocked_to_warp_striped_kernelIyyLj128ELj1EEvPT_PT0_
	.globl	_Z30blocked_to_warp_striped_kernelIyyLj128ELj1EEvPT_PT0_
	.p2align	8
	.type	_Z30blocked_to_warp_striped_kernelIyyLj128ELj1EEvPT_PT0_,@function
_Z30blocked_to_warp_striped_kernelIyyLj128ELj1EEvPT_PT0_: ; @_Z30blocked_to_warp_striped_kernelIyyLj128ELj1EEvPT_PT0_
; %bb.0:
	s_load_b128 s[0:3], s[0:1], 0x0
	s_bfe_u32 s4, ttmp6, 0x4000c
	s_and_b32 s5, ttmp6, 15
	s_add_co_i32 s4, s4, 1
	s_getreg_b32 s6, hwreg(HW_REG_IB_STS2, 6, 4)
	s_mul_i32 s4, ttmp9, s4
	v_mbcnt_lo_u32_b32 v1, -1, 0
	s_add_co_i32 s5, s5, s4
	s_cmp_eq_u32 s6, 0
	s_cselect_b32 s4, ttmp9, s5
	s_mov_b32 s5, 0
	s_lshl_b32 s4, s4, 7
	v_and_or_b32 v1, 0x1c0, v0, v1
	s_lshl_b64 s[4:5], s[4:5], 3
	s_delay_alu instid0(VALU_DEP_1)
	v_lshlrev_b32_e32 v1, 3, v1
	s_wait_kmcnt 0x0
	s_add_nc_u64 s[0:1], s[0:1], s[4:5]
	global_load_b64 v[2:3], v0, s[0:1] scale_offset
	s_wait_xcnt 0x0
	s_add_nc_u64 s[0:1], s[2:3], s[4:5]
	s_wait_loadcnt 0x0
	ds_store_b64 v1, v[2:3]
	; wave barrier
	ds_load_b64 v[2:3], v1
	s_wait_dscnt 0x0
	global_store_b64 v0, v[2:3], s[0:1] scale_offset
	s_endpgm
	.section	.rodata,"a",@progbits
	.p2align	6, 0x0
	.amdhsa_kernel _Z30blocked_to_warp_striped_kernelIyyLj128ELj1EEvPT_PT0_
		.amdhsa_group_segment_fixed_size 1024
		.amdhsa_private_segment_fixed_size 0
		.amdhsa_kernarg_size 16
		.amdhsa_user_sgpr_count 2
		.amdhsa_user_sgpr_dispatch_ptr 0
		.amdhsa_user_sgpr_queue_ptr 0
		.amdhsa_user_sgpr_kernarg_segment_ptr 1
		.amdhsa_user_sgpr_dispatch_id 0
		.amdhsa_user_sgpr_kernarg_preload_length 0
		.amdhsa_user_sgpr_kernarg_preload_offset 0
		.amdhsa_user_sgpr_private_segment_size 0
		.amdhsa_wavefront_size32 1
		.amdhsa_uses_dynamic_stack 0
		.amdhsa_enable_private_segment 0
		.amdhsa_system_sgpr_workgroup_id_x 1
		.amdhsa_system_sgpr_workgroup_id_y 0
		.amdhsa_system_sgpr_workgroup_id_z 0
		.amdhsa_system_sgpr_workgroup_info 0
		.amdhsa_system_vgpr_workitem_id 0
		.amdhsa_next_free_vgpr 4
		.amdhsa_next_free_sgpr 7
		.amdhsa_named_barrier_count 0
		.amdhsa_reserve_vcc 0
		.amdhsa_float_round_mode_32 0
		.amdhsa_float_round_mode_16_64 0
		.amdhsa_float_denorm_mode_32 3
		.amdhsa_float_denorm_mode_16_64 3
		.amdhsa_fp16_overflow 0
		.amdhsa_memory_ordered 1
		.amdhsa_forward_progress 1
		.amdhsa_inst_pref_size 2
		.amdhsa_round_robin_scheduling 0
		.amdhsa_exception_fp_ieee_invalid_op 0
		.amdhsa_exception_fp_denorm_src 0
		.amdhsa_exception_fp_ieee_div_zero 0
		.amdhsa_exception_fp_ieee_overflow 0
		.amdhsa_exception_fp_ieee_underflow 0
		.amdhsa_exception_fp_ieee_inexact 0
		.amdhsa_exception_int_div_zero 0
	.end_amdhsa_kernel
	.section	.text._Z30blocked_to_warp_striped_kernelIyyLj128ELj1EEvPT_PT0_,"axG",@progbits,_Z30blocked_to_warp_striped_kernelIyyLj128ELj1EEvPT_PT0_,comdat
.Lfunc_end51:
	.size	_Z30blocked_to_warp_striped_kernelIyyLj128ELj1EEvPT_PT0_, .Lfunc_end51-_Z30blocked_to_warp_striped_kernelIyyLj128ELj1EEvPT_PT0_
                                        ; -- End function
	.set _Z30blocked_to_warp_striped_kernelIyyLj128ELj1EEvPT_PT0_.num_vgpr, 4
	.set _Z30blocked_to_warp_striped_kernelIyyLj128ELj1EEvPT_PT0_.num_agpr, 0
	.set _Z30blocked_to_warp_striped_kernelIyyLj128ELj1EEvPT_PT0_.numbered_sgpr, 7
	.set _Z30blocked_to_warp_striped_kernelIyyLj128ELj1EEvPT_PT0_.num_named_barrier, 0
	.set _Z30blocked_to_warp_striped_kernelIyyLj128ELj1EEvPT_PT0_.private_seg_size, 0
	.set _Z30blocked_to_warp_striped_kernelIyyLj128ELj1EEvPT_PT0_.uses_vcc, 0
	.set _Z30blocked_to_warp_striped_kernelIyyLj128ELj1EEvPT_PT0_.uses_flat_scratch, 0
	.set _Z30blocked_to_warp_striped_kernelIyyLj128ELj1EEvPT_PT0_.has_dyn_sized_stack, 0
	.set _Z30blocked_to_warp_striped_kernelIyyLj128ELj1EEvPT_PT0_.has_recursion, 0
	.set _Z30blocked_to_warp_striped_kernelIyyLj128ELj1EEvPT_PT0_.has_indirect_call, 0
	.section	.AMDGPU.csdata,"",@progbits
; Kernel info:
; codeLenInByte = 152
; TotalNumSgprs: 7
; NumVgprs: 4
; ScratchSize: 0
; MemoryBound: 0
; FloatMode: 240
; IeeeMode: 1
; LDSByteSize: 1024 bytes/workgroup (compile time only)
; SGPRBlocks: 0
; VGPRBlocks: 0
; NumSGPRsForWavesPerEU: 7
; NumVGPRsForWavesPerEU: 4
; NamedBarCnt: 0
; Occupancy: 16
; WaveLimiterHint : 0
; COMPUTE_PGM_RSRC2:SCRATCH_EN: 0
; COMPUTE_PGM_RSRC2:USER_SGPR: 2
; COMPUTE_PGM_RSRC2:TRAP_HANDLER: 0
; COMPUTE_PGM_RSRC2:TGID_X_EN: 1
; COMPUTE_PGM_RSRC2:TGID_Y_EN: 0
; COMPUTE_PGM_RSRC2:TGID_Z_EN: 0
; COMPUTE_PGM_RSRC2:TIDIG_COMP_CNT: 0
	.section	.text._Z30blocked_to_warp_striped_kernelIixLj64ELj1EEvPT_PT0_,"axG",@progbits,_Z30blocked_to_warp_striped_kernelIixLj64ELj1EEvPT_PT0_,comdat
	.protected	_Z30blocked_to_warp_striped_kernelIixLj64ELj1EEvPT_PT0_ ; -- Begin function _Z30blocked_to_warp_striped_kernelIixLj64ELj1EEvPT_PT0_
	.globl	_Z30blocked_to_warp_striped_kernelIixLj64ELj1EEvPT_PT0_
	.p2align	8
	.type	_Z30blocked_to_warp_striped_kernelIixLj64ELj1EEvPT_PT0_,@function
_Z30blocked_to_warp_striped_kernelIixLj64ELj1EEvPT_PT0_: ; @_Z30blocked_to_warp_striped_kernelIixLj64ELj1EEvPT_PT0_
; %bb.0:
	s_load_b128 s[0:3], s[0:1], 0x0
	s_bfe_u32 s4, ttmp6, 0x4000c
	s_and_b32 s5, ttmp6, 15
	s_add_co_i32 s4, s4, 1
	s_getreg_b32 s6, hwreg(HW_REG_IB_STS2, 6, 4)
	s_mul_i32 s4, ttmp9, s4
	v_mbcnt_lo_u32_b32 v2, -1, 0
	s_add_co_i32 s5, s5, s4
	s_cmp_eq_u32 s6, 0
	s_cselect_b32 s4, ttmp9, s5
	s_mov_b32 s5, 0
	s_lshl_b32 s4, s4, 6
	v_and_or_b32 v2, 0x1c0, v0, v2
	s_lshl_b64 s[6:7], s[4:5], 2
	s_delay_alu instid0(VALU_DEP_1)
	v_lshlrev_b32_e32 v2, 2, v2
	s_wait_kmcnt 0x0
	s_add_nc_u64 s[0:1], s[0:1], s[6:7]
	global_load_b32 v1, v0, s[0:1] scale_offset
	s_wait_xcnt 0x0
	s_lshl_b64 s[0:1], s[4:5], 3
	s_delay_alu instid0(SALU_CYCLE_1)
	s_add_nc_u64 s[0:1], s[2:3], s[0:1]
	s_wait_loadcnt 0x0
	ds_store_b32 v2, v1
	; wave barrier
	ds_load_b32 v2, v2
	s_wait_dscnt 0x0
	v_ashrrev_i32_e32 v3, 31, v2
	global_store_b64 v0, v[2:3], s[0:1] scale_offset
	s_endpgm
	.section	.rodata,"a",@progbits
	.p2align	6, 0x0
	.amdhsa_kernel _Z30blocked_to_warp_striped_kernelIixLj64ELj1EEvPT_PT0_
		.amdhsa_group_segment_fixed_size 256
		.amdhsa_private_segment_fixed_size 0
		.amdhsa_kernarg_size 16
		.amdhsa_user_sgpr_count 2
		.amdhsa_user_sgpr_dispatch_ptr 0
		.amdhsa_user_sgpr_queue_ptr 0
		.amdhsa_user_sgpr_kernarg_segment_ptr 1
		.amdhsa_user_sgpr_dispatch_id 0
		.amdhsa_user_sgpr_kernarg_preload_length 0
		.amdhsa_user_sgpr_kernarg_preload_offset 0
		.amdhsa_user_sgpr_private_segment_size 0
		.amdhsa_wavefront_size32 1
		.amdhsa_uses_dynamic_stack 0
		.amdhsa_enable_private_segment 0
		.amdhsa_system_sgpr_workgroup_id_x 1
		.amdhsa_system_sgpr_workgroup_id_y 0
		.amdhsa_system_sgpr_workgroup_id_z 0
		.amdhsa_system_sgpr_workgroup_info 0
		.amdhsa_system_vgpr_workitem_id 0
		.amdhsa_next_free_vgpr 4
		.amdhsa_next_free_sgpr 8
		.amdhsa_named_barrier_count 0
		.amdhsa_reserve_vcc 0
		.amdhsa_float_round_mode_32 0
		.amdhsa_float_round_mode_16_64 0
		.amdhsa_float_denorm_mode_32 3
		.amdhsa_float_denorm_mode_16_64 3
		.amdhsa_fp16_overflow 0
		.amdhsa_memory_ordered 1
		.amdhsa_forward_progress 1
		.amdhsa_inst_pref_size 2
		.amdhsa_round_robin_scheduling 0
		.amdhsa_exception_fp_ieee_invalid_op 0
		.amdhsa_exception_fp_denorm_src 0
		.amdhsa_exception_fp_ieee_div_zero 0
		.amdhsa_exception_fp_ieee_overflow 0
		.amdhsa_exception_fp_ieee_underflow 0
		.amdhsa_exception_fp_ieee_inexact 0
		.amdhsa_exception_int_div_zero 0
	.end_amdhsa_kernel
	.section	.text._Z30blocked_to_warp_striped_kernelIixLj64ELj1EEvPT_PT0_,"axG",@progbits,_Z30blocked_to_warp_striped_kernelIixLj64ELj1EEvPT_PT0_,comdat
.Lfunc_end52:
	.size	_Z30blocked_to_warp_striped_kernelIixLj64ELj1EEvPT_PT0_, .Lfunc_end52-_Z30blocked_to_warp_striped_kernelIixLj64ELj1EEvPT_PT0_
                                        ; -- End function
	.set _Z30blocked_to_warp_striped_kernelIixLj64ELj1EEvPT_PT0_.num_vgpr, 4
	.set _Z30blocked_to_warp_striped_kernelIixLj64ELj1EEvPT_PT0_.num_agpr, 0
	.set _Z30blocked_to_warp_striped_kernelIixLj64ELj1EEvPT_PT0_.numbered_sgpr, 8
	.set _Z30blocked_to_warp_striped_kernelIixLj64ELj1EEvPT_PT0_.num_named_barrier, 0
	.set _Z30blocked_to_warp_striped_kernelIixLj64ELj1EEvPT_PT0_.private_seg_size, 0
	.set _Z30blocked_to_warp_striped_kernelIixLj64ELj1EEvPT_PT0_.uses_vcc, 0
	.set _Z30blocked_to_warp_striped_kernelIixLj64ELj1EEvPT_PT0_.uses_flat_scratch, 0
	.set _Z30blocked_to_warp_striped_kernelIixLj64ELj1EEvPT_PT0_.has_dyn_sized_stack, 0
	.set _Z30blocked_to_warp_striped_kernelIixLj64ELj1EEvPT_PT0_.has_recursion, 0
	.set _Z30blocked_to_warp_striped_kernelIixLj64ELj1EEvPT_PT0_.has_indirect_call, 0
	.section	.AMDGPU.csdata,"",@progbits
; Kernel info:
; codeLenInByte = 164
; TotalNumSgprs: 8
; NumVgprs: 4
; ScratchSize: 0
; MemoryBound: 0
; FloatMode: 240
; IeeeMode: 1
; LDSByteSize: 256 bytes/workgroup (compile time only)
; SGPRBlocks: 0
; VGPRBlocks: 0
; NumSGPRsForWavesPerEU: 8
; NumVGPRsForWavesPerEU: 4
; NamedBarCnt: 0
; Occupancy: 16
; WaveLimiterHint : 0
; COMPUTE_PGM_RSRC2:SCRATCH_EN: 0
; COMPUTE_PGM_RSRC2:USER_SGPR: 2
; COMPUTE_PGM_RSRC2:TRAP_HANDLER: 0
; COMPUTE_PGM_RSRC2:TGID_X_EN: 1
; COMPUTE_PGM_RSRC2:TGID_Y_EN: 0
; COMPUTE_PGM_RSRC2:TGID_Z_EN: 0
; COMPUTE_PGM_RSRC2:TIDIG_COMP_CNT: 0
	.section	.text._Z30blocked_to_warp_striped_kernelI6__halfS0_Lj512ELj4EEvPT_PT0_,"axG",@progbits,_Z30blocked_to_warp_striped_kernelI6__halfS0_Lj512ELj4EEvPT_PT0_,comdat
	.protected	_Z30blocked_to_warp_striped_kernelI6__halfS0_Lj512ELj4EEvPT_PT0_ ; -- Begin function _Z30blocked_to_warp_striped_kernelI6__halfS0_Lj512ELj4EEvPT_PT0_
	.globl	_Z30blocked_to_warp_striped_kernelI6__halfS0_Lj512ELj4EEvPT_PT0_
	.p2align	8
	.type	_Z30blocked_to_warp_striped_kernelI6__halfS0_Lj512ELj4EEvPT_PT0_,@function
_Z30blocked_to_warp_striped_kernelI6__halfS0_Lj512ELj4EEvPT_PT0_: ; @_Z30blocked_to_warp_striped_kernelI6__halfS0_Lj512ELj4EEvPT_PT0_
; %bb.0:
	s_load_b128 s[0:3], s[0:1], 0x0
	s_bfe_u32 s4, ttmp6, 0x4000c
	s_and_b32 s5, ttmp6, 15
	s_add_co_i32 s4, s4, 1
	s_getreg_b32 s6, hwreg(HW_REG_IB_STS2, 6, 4)
	s_mul_i32 s4, ttmp9, s4
	v_mbcnt_lo_u32_b32 v1, -1, 0
	s_add_co_i32 s5, s5, s4
	s_cmp_eq_u32 s6, 0
	v_lshlrev_b32_e32 v5, 2, v0
	s_cselect_b32 s4, ttmp9, s5
	s_mov_b32 s5, 0
	s_lshl_b32 s4, s4, 9
	v_and_or_b32 v4, 0x1c0, v0, v1
	s_lshl_b64 s[4:5], s[4:5], 1
	v_and_b32_e32 v5, 0x700, v5
	s_delay_alu instid0(VALU_DEP_1)
	v_dual_lshrrev_b32 v6, 2, v4 :: v_dual_bitop2_b32 v1, v1, v5 bitop3:0x54
	s_wait_kmcnt 0x0
	s_add_nc_u64 s[0:1], s[0:1], s[4:5]
	v_or_b32_e32 v7, 64, v5
	global_load_b64 v[2:3], v0, s[0:1] scale_offset
	v_or_b32_e32 v8, 0x80, v5
	v_or_b32_e32 v9, 0xc0, v5
	v_and_b32_e32 v6, 0x74, v6
	v_lshrrev_b32_e32 v5, 4, v5
	v_dual_lshlrev_b32 v1, 1, v1 :: v_dual_lshrrev_b32 v7, 4, v7
	s_delay_alu instid0(VALU_DEP_4) | instskip(NEXT) | instid1(VALU_DEP_4)
	v_dual_lshrrev_b32 v8, 4, v8 :: v_dual_lshrrev_b32 v9, 4, v9
	v_lshl_add_u32 v4, v4, 3, v6
	s_delay_alu instid0(VALU_DEP_3) | instskip(NEXT) | instid1(VALU_DEP_3)
	v_dual_add_nc_u32 v5, v5, v1 :: v_dual_add_nc_u32 v6, v7, v1
	v_dual_add_nc_u32 v7, v8, v1 :: v_dual_add_nc_u32 v1, v9, v1
	s_wait_xcnt 0x0
	s_add_nc_u64 s[0:1], s[2:3], s[4:5]
	s_wait_loadcnt 0x0
	ds_store_2addr_b32 v4, v2, v3 offset1:1
	; wave barrier
	ds_load_u16 v2, v5
	ds_load_u16 v3, v7 offset:256
	ds_load_u16 v1, v1 offset:384
	;; [unrolled: 1-line block ×3, first 2 shown]
	s_wait_dscnt 0x1
	v_perm_b32 v3, v1, v3, 0x5040100
	s_wait_dscnt 0x0
	v_perm_b32 v2, v4, v2, 0x5040100
	global_store_b64 v0, v[2:3], s[0:1] scale_offset
	s_endpgm
	.section	.rodata,"a",@progbits
	.p2align	6, 0x0
	.amdhsa_kernel _Z30blocked_to_warp_striped_kernelI6__halfS0_Lj512ELj4EEvPT_PT0_
		.amdhsa_group_segment_fixed_size 1056
		.amdhsa_private_segment_fixed_size 0
		.amdhsa_kernarg_size 16
		.amdhsa_user_sgpr_count 2
		.amdhsa_user_sgpr_dispatch_ptr 0
		.amdhsa_user_sgpr_queue_ptr 0
		.amdhsa_user_sgpr_kernarg_segment_ptr 1
		.amdhsa_user_sgpr_dispatch_id 0
		.amdhsa_user_sgpr_kernarg_preload_length 0
		.amdhsa_user_sgpr_kernarg_preload_offset 0
		.amdhsa_user_sgpr_private_segment_size 0
		.amdhsa_wavefront_size32 1
		.amdhsa_uses_dynamic_stack 0
		.amdhsa_enable_private_segment 0
		.amdhsa_system_sgpr_workgroup_id_x 1
		.amdhsa_system_sgpr_workgroup_id_y 0
		.amdhsa_system_sgpr_workgroup_id_z 0
		.amdhsa_system_sgpr_workgroup_info 0
		.amdhsa_system_vgpr_workitem_id 0
		.amdhsa_next_free_vgpr 10
		.amdhsa_next_free_sgpr 7
		.amdhsa_named_barrier_count 0
		.amdhsa_reserve_vcc 0
		.amdhsa_float_round_mode_32 0
		.amdhsa_float_round_mode_16_64 0
		.amdhsa_float_denorm_mode_32 3
		.amdhsa_float_denorm_mode_16_64 3
		.amdhsa_fp16_overflow 0
		.amdhsa_memory_ordered 1
		.amdhsa_forward_progress 1
		.amdhsa_inst_pref_size 3
		.amdhsa_round_robin_scheduling 0
		.amdhsa_exception_fp_ieee_invalid_op 0
		.amdhsa_exception_fp_denorm_src 0
		.amdhsa_exception_fp_ieee_div_zero 0
		.amdhsa_exception_fp_ieee_overflow 0
		.amdhsa_exception_fp_ieee_underflow 0
		.amdhsa_exception_fp_ieee_inexact 0
		.amdhsa_exception_int_div_zero 0
	.end_amdhsa_kernel
	.section	.text._Z30blocked_to_warp_striped_kernelI6__halfS0_Lj512ELj4EEvPT_PT0_,"axG",@progbits,_Z30blocked_to_warp_striped_kernelI6__halfS0_Lj512ELj4EEvPT_PT0_,comdat
.Lfunc_end53:
	.size	_Z30blocked_to_warp_striped_kernelI6__halfS0_Lj512ELj4EEvPT_PT0_, .Lfunc_end53-_Z30blocked_to_warp_striped_kernelI6__halfS0_Lj512ELj4EEvPT_PT0_
                                        ; -- End function
	.set _Z30blocked_to_warp_striped_kernelI6__halfS0_Lj512ELj4EEvPT_PT0_.num_vgpr, 10
	.set _Z30blocked_to_warp_striped_kernelI6__halfS0_Lj512ELj4EEvPT_PT0_.num_agpr, 0
	.set _Z30blocked_to_warp_striped_kernelI6__halfS0_Lj512ELj4EEvPT_PT0_.numbered_sgpr, 7
	.set _Z30blocked_to_warp_striped_kernelI6__halfS0_Lj512ELj4EEvPT_PT0_.num_named_barrier, 0
	.set _Z30blocked_to_warp_striped_kernelI6__halfS0_Lj512ELj4EEvPT_PT0_.private_seg_size, 0
	.set _Z30blocked_to_warp_striped_kernelI6__halfS0_Lj512ELj4EEvPT_PT0_.uses_vcc, 0
	.set _Z30blocked_to_warp_striped_kernelI6__halfS0_Lj512ELj4EEvPT_PT0_.uses_flat_scratch, 0
	.set _Z30blocked_to_warp_striped_kernelI6__halfS0_Lj512ELj4EEvPT_PT0_.has_dyn_sized_stack, 0
	.set _Z30blocked_to_warp_striped_kernelI6__halfS0_Lj512ELj4EEvPT_PT0_.has_recursion, 0
	.set _Z30blocked_to_warp_striped_kernelI6__halfS0_Lj512ELj4EEvPT_PT0_.has_indirect_call, 0
	.section	.AMDGPU.csdata,"",@progbits
; Kernel info:
; codeLenInByte = 320
; TotalNumSgprs: 7
; NumVgprs: 10
; ScratchSize: 0
; MemoryBound: 0
; FloatMode: 240
; IeeeMode: 1
; LDSByteSize: 1056 bytes/workgroup (compile time only)
; SGPRBlocks: 0
; VGPRBlocks: 0
; NumSGPRsForWavesPerEU: 7
; NumVGPRsForWavesPerEU: 10
; NamedBarCnt: 0
; Occupancy: 16
; WaveLimiterHint : 0
; COMPUTE_PGM_RSRC2:SCRATCH_EN: 0
; COMPUTE_PGM_RSRC2:USER_SGPR: 2
; COMPUTE_PGM_RSRC2:TRAP_HANDLER: 0
; COMPUTE_PGM_RSRC2:TGID_X_EN: 1
; COMPUTE_PGM_RSRC2:TGID_Y_EN: 0
; COMPUTE_PGM_RSRC2:TGID_Z_EN: 0
; COMPUTE_PGM_RSRC2:TIDIG_COMP_CNT: 0
	.section	.text._Z30blocked_to_warp_striped_kernelI12hip_bfloat16S0_Lj512ELj4EEvPT_PT0_,"axG",@progbits,_Z30blocked_to_warp_striped_kernelI12hip_bfloat16S0_Lj512ELj4EEvPT_PT0_,comdat
	.protected	_Z30blocked_to_warp_striped_kernelI12hip_bfloat16S0_Lj512ELj4EEvPT_PT0_ ; -- Begin function _Z30blocked_to_warp_striped_kernelI12hip_bfloat16S0_Lj512ELj4EEvPT_PT0_
	.globl	_Z30blocked_to_warp_striped_kernelI12hip_bfloat16S0_Lj512ELj4EEvPT_PT0_
	.p2align	8
	.type	_Z30blocked_to_warp_striped_kernelI12hip_bfloat16S0_Lj512ELj4EEvPT_PT0_,@function
_Z30blocked_to_warp_striped_kernelI12hip_bfloat16S0_Lj512ELj4EEvPT_PT0_: ; @_Z30blocked_to_warp_striped_kernelI12hip_bfloat16S0_Lj512ELj4EEvPT_PT0_
; %bb.0:
	s_load_b128 s[0:3], s[0:1], 0x0
	s_bfe_u32 s4, ttmp6, 0x4000c
	s_and_b32 s5, ttmp6, 15
	s_add_co_i32 s4, s4, 1
	s_getreg_b32 s6, hwreg(HW_REG_IB_STS2, 6, 4)
	s_mul_i32 s4, ttmp9, s4
	v_mbcnt_lo_u32_b32 v1, -1, 0
	s_add_co_i32 s5, s5, s4
	s_cmp_eq_u32 s6, 0
	v_lshlrev_b32_e32 v5, 2, v0
	s_cselect_b32 s4, ttmp9, s5
	s_mov_b32 s5, 0
	s_lshl_b32 s4, s4, 9
	v_and_or_b32 v4, 0x1c0, v0, v1
	s_lshl_b64 s[4:5], s[4:5], 1
	v_and_b32_e32 v5, 0x700, v5
	s_delay_alu instid0(VALU_DEP_1)
	v_dual_lshrrev_b32 v6, 2, v4 :: v_dual_bitop2_b32 v1, v1, v5 bitop3:0x54
	s_wait_kmcnt 0x0
	s_add_nc_u64 s[0:1], s[0:1], s[4:5]
	v_or_b32_e32 v7, 64, v5
	global_load_b64 v[2:3], v0, s[0:1] scale_offset
	v_or_b32_e32 v8, 0x80, v5
	v_or_b32_e32 v9, 0xc0, v5
	v_and_b32_e32 v6, 0x74, v6
	v_lshrrev_b32_e32 v5, 4, v5
	v_dual_lshlrev_b32 v1, 1, v1 :: v_dual_lshrrev_b32 v7, 4, v7
	s_delay_alu instid0(VALU_DEP_4) | instskip(NEXT) | instid1(VALU_DEP_4)
	v_dual_lshrrev_b32 v8, 4, v8 :: v_dual_lshrrev_b32 v9, 4, v9
	v_lshl_add_u32 v4, v4, 3, v6
	s_delay_alu instid0(VALU_DEP_3) | instskip(NEXT) | instid1(VALU_DEP_3)
	v_dual_add_nc_u32 v5, v5, v1 :: v_dual_add_nc_u32 v6, v7, v1
	v_dual_add_nc_u32 v7, v8, v1 :: v_dual_add_nc_u32 v1, v9, v1
	s_wait_xcnt 0x0
	s_add_nc_u64 s[0:1], s[2:3], s[4:5]
	s_wait_loadcnt 0x0
	ds_store_2addr_b32 v4, v2, v3 offset1:1
	; wave barrier
	ds_load_u16 v2, v5
	ds_load_u16 v3, v7 offset:256
	ds_load_u16 v1, v1 offset:384
	;; [unrolled: 1-line block ×3, first 2 shown]
	s_wait_dscnt 0x1
	v_perm_b32 v3, v1, v3, 0x5040100
	s_wait_dscnt 0x0
	v_perm_b32 v2, v4, v2, 0x5040100
	global_store_b64 v0, v[2:3], s[0:1] scale_offset
	s_endpgm
	.section	.rodata,"a",@progbits
	.p2align	6, 0x0
	.amdhsa_kernel _Z30blocked_to_warp_striped_kernelI12hip_bfloat16S0_Lj512ELj4EEvPT_PT0_
		.amdhsa_group_segment_fixed_size 1056
		.amdhsa_private_segment_fixed_size 0
		.amdhsa_kernarg_size 16
		.amdhsa_user_sgpr_count 2
		.amdhsa_user_sgpr_dispatch_ptr 0
		.amdhsa_user_sgpr_queue_ptr 0
		.amdhsa_user_sgpr_kernarg_segment_ptr 1
		.amdhsa_user_sgpr_dispatch_id 0
		.amdhsa_user_sgpr_kernarg_preload_length 0
		.amdhsa_user_sgpr_kernarg_preload_offset 0
		.amdhsa_user_sgpr_private_segment_size 0
		.amdhsa_wavefront_size32 1
		.amdhsa_uses_dynamic_stack 0
		.amdhsa_enable_private_segment 0
		.amdhsa_system_sgpr_workgroup_id_x 1
		.amdhsa_system_sgpr_workgroup_id_y 0
		.amdhsa_system_sgpr_workgroup_id_z 0
		.amdhsa_system_sgpr_workgroup_info 0
		.amdhsa_system_vgpr_workitem_id 0
		.amdhsa_next_free_vgpr 10
		.amdhsa_next_free_sgpr 7
		.amdhsa_named_barrier_count 0
		.amdhsa_reserve_vcc 0
		.amdhsa_float_round_mode_32 0
		.amdhsa_float_round_mode_16_64 0
		.amdhsa_float_denorm_mode_32 3
		.amdhsa_float_denorm_mode_16_64 3
		.amdhsa_fp16_overflow 0
		.amdhsa_memory_ordered 1
		.amdhsa_forward_progress 1
		.amdhsa_inst_pref_size 3
		.amdhsa_round_robin_scheduling 0
		.amdhsa_exception_fp_ieee_invalid_op 0
		.amdhsa_exception_fp_denorm_src 0
		.amdhsa_exception_fp_ieee_div_zero 0
		.amdhsa_exception_fp_ieee_overflow 0
		.amdhsa_exception_fp_ieee_underflow 0
		.amdhsa_exception_fp_ieee_inexact 0
		.amdhsa_exception_int_div_zero 0
	.end_amdhsa_kernel
	.section	.text._Z30blocked_to_warp_striped_kernelI12hip_bfloat16S0_Lj512ELj4EEvPT_PT0_,"axG",@progbits,_Z30blocked_to_warp_striped_kernelI12hip_bfloat16S0_Lj512ELj4EEvPT_PT0_,comdat
.Lfunc_end54:
	.size	_Z30blocked_to_warp_striped_kernelI12hip_bfloat16S0_Lj512ELj4EEvPT_PT0_, .Lfunc_end54-_Z30blocked_to_warp_striped_kernelI12hip_bfloat16S0_Lj512ELj4EEvPT_PT0_
                                        ; -- End function
	.set _Z30blocked_to_warp_striped_kernelI12hip_bfloat16S0_Lj512ELj4EEvPT_PT0_.num_vgpr, 10
	.set _Z30blocked_to_warp_striped_kernelI12hip_bfloat16S0_Lj512ELj4EEvPT_PT0_.num_agpr, 0
	.set _Z30blocked_to_warp_striped_kernelI12hip_bfloat16S0_Lj512ELj4EEvPT_PT0_.numbered_sgpr, 7
	.set _Z30blocked_to_warp_striped_kernelI12hip_bfloat16S0_Lj512ELj4EEvPT_PT0_.num_named_barrier, 0
	.set _Z30blocked_to_warp_striped_kernelI12hip_bfloat16S0_Lj512ELj4EEvPT_PT0_.private_seg_size, 0
	.set _Z30blocked_to_warp_striped_kernelI12hip_bfloat16S0_Lj512ELj4EEvPT_PT0_.uses_vcc, 0
	.set _Z30blocked_to_warp_striped_kernelI12hip_bfloat16S0_Lj512ELj4EEvPT_PT0_.uses_flat_scratch, 0
	.set _Z30blocked_to_warp_striped_kernelI12hip_bfloat16S0_Lj512ELj4EEvPT_PT0_.has_dyn_sized_stack, 0
	.set _Z30blocked_to_warp_striped_kernelI12hip_bfloat16S0_Lj512ELj4EEvPT_PT0_.has_recursion, 0
	.set _Z30blocked_to_warp_striped_kernelI12hip_bfloat16S0_Lj512ELj4EEvPT_PT0_.has_indirect_call, 0
	.section	.AMDGPU.csdata,"",@progbits
; Kernel info:
; codeLenInByte = 320
; TotalNumSgprs: 7
; NumVgprs: 10
; ScratchSize: 0
; MemoryBound: 0
; FloatMode: 240
; IeeeMode: 1
; LDSByteSize: 1056 bytes/workgroup (compile time only)
; SGPRBlocks: 0
; VGPRBlocks: 0
; NumSGPRsForWavesPerEU: 7
; NumVGPRsForWavesPerEU: 10
; NamedBarCnt: 0
; Occupancy: 16
; WaveLimiterHint : 0
; COMPUTE_PGM_RSRC2:SCRATCH_EN: 0
; COMPUTE_PGM_RSRC2:USER_SGPR: 2
; COMPUTE_PGM_RSRC2:TRAP_HANDLER: 0
; COMPUTE_PGM_RSRC2:TGID_X_EN: 1
; COMPUTE_PGM_RSRC2:TGID_Y_EN: 0
; COMPUTE_PGM_RSRC2:TGID_Z_EN: 0
; COMPUTE_PGM_RSRC2:TIDIG_COMP_CNT: 0
	.section	.text._Z30blocked_to_warp_striped_kernelIfdLj512ELj4EEvPT_PT0_,"axG",@progbits,_Z30blocked_to_warp_striped_kernelIfdLj512ELj4EEvPT_PT0_,comdat
	.protected	_Z30blocked_to_warp_striped_kernelIfdLj512ELj4EEvPT_PT0_ ; -- Begin function _Z30blocked_to_warp_striped_kernelIfdLj512ELj4EEvPT_PT0_
	.globl	_Z30blocked_to_warp_striped_kernelIfdLj512ELj4EEvPT_PT0_
	.p2align	8
	.type	_Z30blocked_to_warp_striped_kernelIfdLj512ELj4EEvPT_PT0_,@function
_Z30blocked_to_warp_striped_kernelIfdLj512ELj4EEvPT_PT0_: ; @_Z30blocked_to_warp_striped_kernelIfdLj512ELj4EEvPT_PT0_
; %bb.0:
	s_load_b128 s[0:3], s[0:1], 0x0
	s_bfe_u32 s4, ttmp6, 0x4000c
	s_and_b32 s5, ttmp6, 15
	s_add_co_i32 s4, s4, 1
	s_getreg_b32 s6, hwreg(HW_REG_IB_STS2, 6, 4)
	s_mul_i32 s4, ttmp9, s4
	v_mbcnt_lo_u32_b32 v1, -1, 0
	s_add_co_i32 s5, s5, s4
	s_cmp_eq_u32 s6, 0
	s_cselect_b32 s4, ttmp9, s5
	s_mov_b32 s5, 0
	s_lshl_b32 s4, s4, 9
	v_and_or_b32 v7, 0x1c0, v0, v1
	s_lshl_b64 s[6:7], s[4:5], 2
	s_delay_alu instid0(VALU_DEP_1) | instskip(SKIP_3) | instid1(VALU_DEP_2)
	v_dual_lshlrev_b32 v6, 2, v0 :: v_dual_lshlrev_b32 v8, 2, v7
	v_bfe_u32 v7, v7, 3, 27
	s_wait_kmcnt 0x0
	s_add_nc_u64 s[0:1], s[0:1], s[6:7]
	v_and_b32_e32 v6, 0x700, v6
	global_load_b128 v[2:5], v0, s[0:1] scale_offset
	s_wait_xcnt 0x0
	s_lshl_b64 s[0:1], s[4:5], 3
	v_add_lshl_u32 v7, v7, v8, 2
	v_dual_lshlrev_b32 v0, 5, v0 :: v_dual_bitop2_b32 v1, v1, v6 bitop3:0x54
	v_or_b32_e32 v9, 64, v6
	v_or_b32_e32 v10, 0x80, v6
	;; [unrolled: 1-line block ×3, first 2 shown]
	s_delay_alu instid0(VALU_DEP_4) | instskip(NEXT) | instid1(VALU_DEP_3)
	v_dual_lshrrev_b32 v6, 3, v6 :: v_dual_lshlrev_b32 v1, 2, v1
	v_dual_lshrrev_b32 v9, 3, v9 :: v_dual_lshrrev_b32 v10, 3, v10
	s_delay_alu instid0(VALU_DEP_3) | instskip(SKIP_1) | instid1(VALU_DEP_2)
	v_lshrrev_b32_e32 v11, 3, v11
	s_add_nc_u64 s[0:1], s[2:3], s[0:1]
	v_dual_add_nc_u32 v6, v6, v1 :: v_dual_add_nc_u32 v8, v9, v1
	s_delay_alu instid0(VALU_DEP_2)
	v_dual_add_nc_u32 v9, v10, v1 :: v_dual_add_nc_u32 v1, v11, v1
	s_wait_loadcnt 0x0
	ds_store_2addr_b32 v7, v2, v3 offset1:1
	ds_store_2addr_b32 v7, v4, v5 offset0:2 offset1:3
	; wave barrier
	ds_load_b32 v2, v6
	ds_load_b32 v4, v8 offset:256
	ds_load_b32 v6, v9 offset:512
	;; [unrolled: 1-line block ×3, first 2 shown]
	s_wait_dscnt 0x3
	v_cvt_f64_f32_e32 v[2:3], v2
	s_wait_dscnt 0x2
	v_cvt_f64_f32_e32 v[4:5], v4
	;; [unrolled: 2-line block ×4, first 2 shown]
	s_clause 0x1
	global_store_b128 v0, v[2:5], s[0:1]
	global_store_b128 v0, v[6:9], s[0:1] offset:16
	s_endpgm
	.section	.rodata,"a",@progbits
	.p2align	6, 0x0
	.amdhsa_kernel _Z30blocked_to_warp_striped_kernelIfdLj512ELj4EEvPT_PT0_
		.amdhsa_group_segment_fixed_size 2112
		.amdhsa_private_segment_fixed_size 0
		.amdhsa_kernarg_size 16
		.amdhsa_user_sgpr_count 2
		.amdhsa_user_sgpr_dispatch_ptr 0
		.amdhsa_user_sgpr_queue_ptr 0
		.amdhsa_user_sgpr_kernarg_segment_ptr 1
		.amdhsa_user_sgpr_dispatch_id 0
		.amdhsa_user_sgpr_kernarg_preload_length 0
		.amdhsa_user_sgpr_kernarg_preload_offset 0
		.amdhsa_user_sgpr_private_segment_size 0
		.amdhsa_wavefront_size32 1
		.amdhsa_uses_dynamic_stack 0
		.amdhsa_enable_private_segment 0
		.amdhsa_system_sgpr_workgroup_id_x 1
		.amdhsa_system_sgpr_workgroup_id_y 0
		.amdhsa_system_sgpr_workgroup_id_z 0
		.amdhsa_system_sgpr_workgroup_info 0
		.amdhsa_system_vgpr_workitem_id 0
		.amdhsa_next_free_vgpr 12
		.amdhsa_next_free_sgpr 8
		.amdhsa_named_barrier_count 0
		.amdhsa_reserve_vcc 0
		.amdhsa_float_round_mode_32 0
		.amdhsa_float_round_mode_16_64 0
		.amdhsa_float_denorm_mode_32 3
		.amdhsa_float_denorm_mode_16_64 3
		.amdhsa_fp16_overflow 0
		.amdhsa_memory_ordered 1
		.amdhsa_forward_progress 1
		.amdhsa_inst_pref_size 3
		.amdhsa_round_robin_scheduling 0
		.amdhsa_exception_fp_ieee_invalid_op 0
		.amdhsa_exception_fp_denorm_src 0
		.amdhsa_exception_fp_ieee_div_zero 0
		.amdhsa_exception_fp_ieee_overflow 0
		.amdhsa_exception_fp_ieee_underflow 0
		.amdhsa_exception_fp_ieee_inexact 0
		.amdhsa_exception_int_div_zero 0
	.end_amdhsa_kernel
	.section	.text._Z30blocked_to_warp_striped_kernelIfdLj512ELj4EEvPT_PT0_,"axG",@progbits,_Z30blocked_to_warp_striped_kernelIfdLj512ELj4EEvPT_PT0_,comdat
.Lfunc_end55:
	.size	_Z30blocked_to_warp_striped_kernelIfdLj512ELj4EEvPT_PT0_, .Lfunc_end55-_Z30blocked_to_warp_striped_kernelIfdLj512ELj4EEvPT_PT0_
                                        ; -- End function
	.set _Z30blocked_to_warp_striped_kernelIfdLj512ELj4EEvPT_PT0_.num_vgpr, 12
	.set _Z30blocked_to_warp_striped_kernelIfdLj512ELj4EEvPT_PT0_.num_agpr, 0
	.set _Z30blocked_to_warp_striped_kernelIfdLj512ELj4EEvPT_PT0_.numbered_sgpr, 8
	.set _Z30blocked_to_warp_striped_kernelIfdLj512ELj4EEvPT_PT0_.num_named_barrier, 0
	.set _Z30blocked_to_warp_striped_kernelIfdLj512ELj4EEvPT_PT0_.private_seg_size, 0
	.set _Z30blocked_to_warp_striped_kernelIfdLj512ELj4EEvPT_PT0_.uses_vcc, 0
	.set _Z30blocked_to_warp_striped_kernelIfdLj512ELj4EEvPT_PT0_.uses_flat_scratch, 0
	.set _Z30blocked_to_warp_striped_kernelIfdLj512ELj4EEvPT_PT0_.has_dyn_sized_stack, 0
	.set _Z30blocked_to_warp_striped_kernelIfdLj512ELj4EEvPT_PT0_.has_recursion, 0
	.set _Z30blocked_to_warp_striped_kernelIfdLj512ELj4EEvPT_PT0_.has_indirect_call, 0
	.section	.AMDGPU.csdata,"",@progbits
; Kernel info:
; codeLenInByte = 360
; TotalNumSgprs: 8
; NumVgprs: 12
; ScratchSize: 0
; MemoryBound: 0
; FloatMode: 240
; IeeeMode: 1
; LDSByteSize: 2112 bytes/workgroup (compile time only)
; SGPRBlocks: 0
; VGPRBlocks: 0
; NumSGPRsForWavesPerEU: 8
; NumVGPRsForWavesPerEU: 12
; NamedBarCnt: 0
; Occupancy: 16
; WaveLimiterHint : 0
; COMPUTE_PGM_RSRC2:SCRATCH_EN: 0
; COMPUTE_PGM_RSRC2:USER_SGPR: 2
; COMPUTE_PGM_RSRC2:TRAP_HANDLER: 0
; COMPUTE_PGM_RSRC2:TGID_X_EN: 1
; COMPUTE_PGM_RSRC2:TGID_Y_EN: 0
; COMPUTE_PGM_RSRC2:TGID_Z_EN: 0
; COMPUTE_PGM_RSRC2:TIDIG_COMP_CNT: 0
	.section	.text._Z30blocked_to_warp_striped_kernelIiiLj512ELj4EEvPT_PT0_,"axG",@progbits,_Z30blocked_to_warp_striped_kernelIiiLj512ELj4EEvPT_PT0_,comdat
	.protected	_Z30blocked_to_warp_striped_kernelIiiLj512ELj4EEvPT_PT0_ ; -- Begin function _Z30blocked_to_warp_striped_kernelIiiLj512ELj4EEvPT_PT0_
	.globl	_Z30blocked_to_warp_striped_kernelIiiLj512ELj4EEvPT_PT0_
	.p2align	8
	.type	_Z30blocked_to_warp_striped_kernelIiiLj512ELj4EEvPT_PT0_,@function
_Z30blocked_to_warp_striped_kernelIiiLj512ELj4EEvPT_PT0_: ; @_Z30blocked_to_warp_striped_kernelIiiLj512ELj4EEvPT_PT0_
; %bb.0:
	s_load_b128 s[0:3], s[0:1], 0x0
	s_bfe_u32 s4, ttmp6, 0x4000c
	s_and_b32 s5, ttmp6, 15
	s_add_co_i32 s4, s4, 1
	s_getreg_b32 s6, hwreg(HW_REG_IB_STS2, 6, 4)
	s_mul_i32 s4, ttmp9, s4
	v_mbcnt_lo_u32_b32 v1, -1, 0
	s_add_co_i32 s5, s5, s4
	s_cmp_eq_u32 s6, 0
	s_cselect_b32 s4, ttmp9, s5
	s_mov_b32 s5, 0
	s_lshl_b32 s4, s4, 9
	v_and_or_b32 v7, 0x1c0, v0, v1
	s_lshl_b64 s[4:5], s[4:5], 2
	s_delay_alu instid0(VALU_DEP_1) | instskip(SKIP_3) | instid1(VALU_DEP_2)
	v_dual_lshlrev_b32 v6, 2, v0 :: v_dual_lshlrev_b32 v8, 2, v7
	v_bfe_u32 v7, v7, 3, 27
	s_wait_kmcnt 0x0
	s_add_nc_u64 s[0:1], s[0:1], s[4:5]
	v_and_b32_e32 v6, 0x700, v6
	global_load_b128 v[2:5], v0, s[0:1] scale_offset
	s_wait_xcnt 0x0
	s_add_nc_u64 s[0:1], s[2:3], s[4:5]
	v_add_lshl_u32 v7, v7, v8, 2
	s_wait_loadcnt 0x0
	ds_store_2addr_b32 v7, v2, v3 offset1:1
	ds_store_2addr_b32 v7, v4, v5 offset0:2 offset1:3
	v_or_b32_e32 v1, v1, v6
	v_or_b32_e32 v9, 64, v6
	;; [unrolled: 1-line block ×4, first 2 shown]
	s_delay_alu instid0(VALU_DEP_4) | instskip(NEXT) | instid1(VALU_DEP_3)
	v_dual_lshrrev_b32 v6, 3, v6 :: v_dual_lshlrev_b32 v1, 2, v1
	v_dual_lshrrev_b32 v9, 3, v9 :: v_dual_lshrrev_b32 v10, 3, v10
	s_delay_alu instid0(VALU_DEP_3) | instskip(NEXT) | instid1(VALU_DEP_2)
	v_lshrrev_b32_e32 v11, 3, v11
	v_dual_add_nc_u32 v6, v6, v1 :: v_dual_add_nc_u32 v8, v9, v1
	s_delay_alu instid0(VALU_DEP_2)
	v_dual_add_nc_u32 v9, v10, v1 :: v_dual_add_nc_u32 v1, v11, v1
	; wave barrier
	ds_load_b32 v2, v6
	ds_load_b32 v3, v8 offset:256
	ds_load_b32 v4, v9 offset:512
	ds_load_b32 v5, v1 offset:768
	s_wait_dscnt 0x0
	global_store_b128 v0, v[2:5], s[0:1] scale_offset
	s_endpgm
	.section	.rodata,"a",@progbits
	.p2align	6, 0x0
	.amdhsa_kernel _Z30blocked_to_warp_striped_kernelIiiLj512ELj4EEvPT_PT0_
		.amdhsa_group_segment_fixed_size 2112
		.amdhsa_private_segment_fixed_size 0
		.amdhsa_kernarg_size 16
		.amdhsa_user_sgpr_count 2
		.amdhsa_user_sgpr_dispatch_ptr 0
		.amdhsa_user_sgpr_queue_ptr 0
		.amdhsa_user_sgpr_kernarg_segment_ptr 1
		.amdhsa_user_sgpr_dispatch_id 0
		.amdhsa_user_sgpr_kernarg_preload_length 0
		.amdhsa_user_sgpr_kernarg_preload_offset 0
		.amdhsa_user_sgpr_private_segment_size 0
		.amdhsa_wavefront_size32 1
		.amdhsa_uses_dynamic_stack 0
		.amdhsa_enable_private_segment 0
		.amdhsa_system_sgpr_workgroup_id_x 1
		.amdhsa_system_sgpr_workgroup_id_y 0
		.amdhsa_system_sgpr_workgroup_id_z 0
		.amdhsa_system_sgpr_workgroup_info 0
		.amdhsa_system_vgpr_workitem_id 0
		.amdhsa_next_free_vgpr 12
		.amdhsa_next_free_sgpr 7
		.amdhsa_named_barrier_count 0
		.amdhsa_reserve_vcc 0
		.amdhsa_float_round_mode_32 0
		.amdhsa_float_round_mode_16_64 0
		.amdhsa_float_denorm_mode_32 3
		.amdhsa_float_denorm_mode_16_64 3
		.amdhsa_fp16_overflow 0
		.amdhsa_memory_ordered 1
		.amdhsa_forward_progress 1
		.amdhsa_inst_pref_size 3
		.amdhsa_round_robin_scheduling 0
		.amdhsa_exception_fp_ieee_invalid_op 0
		.amdhsa_exception_fp_denorm_src 0
		.amdhsa_exception_fp_ieee_div_zero 0
		.amdhsa_exception_fp_ieee_overflow 0
		.amdhsa_exception_fp_ieee_underflow 0
		.amdhsa_exception_fp_ieee_inexact 0
		.amdhsa_exception_int_div_zero 0
	.end_amdhsa_kernel
	.section	.text._Z30blocked_to_warp_striped_kernelIiiLj512ELj4EEvPT_PT0_,"axG",@progbits,_Z30blocked_to_warp_striped_kernelIiiLj512ELj4EEvPT_PT0_,comdat
.Lfunc_end56:
	.size	_Z30blocked_to_warp_striped_kernelIiiLj512ELj4EEvPT_PT0_, .Lfunc_end56-_Z30blocked_to_warp_striped_kernelIiiLj512ELj4EEvPT_PT0_
                                        ; -- End function
	.set _Z30blocked_to_warp_striped_kernelIiiLj512ELj4EEvPT_PT0_.num_vgpr, 12
	.set _Z30blocked_to_warp_striped_kernelIiiLj512ELj4EEvPT_PT0_.num_agpr, 0
	.set _Z30blocked_to_warp_striped_kernelIiiLj512ELj4EEvPT_PT0_.numbered_sgpr, 7
	.set _Z30blocked_to_warp_striped_kernelIiiLj512ELj4EEvPT_PT0_.num_named_barrier, 0
	.set _Z30blocked_to_warp_striped_kernelIiiLj512ELj4EEvPT_PT0_.private_seg_size, 0
	.set _Z30blocked_to_warp_striped_kernelIiiLj512ELj4EEvPT_PT0_.uses_vcc, 0
	.set _Z30blocked_to_warp_striped_kernelIiiLj512ELj4EEvPT_PT0_.uses_flat_scratch, 0
	.set _Z30blocked_to_warp_striped_kernelIiiLj512ELj4EEvPT_PT0_.has_dyn_sized_stack, 0
	.set _Z30blocked_to_warp_striped_kernelIiiLj512ELj4EEvPT_PT0_.has_recursion, 0
	.set _Z30blocked_to_warp_striped_kernelIiiLj512ELj4EEvPT_PT0_.has_indirect_call, 0
	.section	.AMDGPU.csdata,"",@progbits
; Kernel info:
; codeLenInByte = 304
; TotalNumSgprs: 7
; NumVgprs: 12
; ScratchSize: 0
; MemoryBound: 0
; FloatMode: 240
; IeeeMode: 1
; LDSByteSize: 2112 bytes/workgroup (compile time only)
; SGPRBlocks: 0
; VGPRBlocks: 0
; NumSGPRsForWavesPerEU: 7
; NumVGPRsForWavesPerEU: 12
; NamedBarCnt: 0
; Occupancy: 16
; WaveLimiterHint : 0
; COMPUTE_PGM_RSRC2:SCRATCH_EN: 0
; COMPUTE_PGM_RSRC2:USER_SGPR: 2
; COMPUTE_PGM_RSRC2:TRAP_HANDLER: 0
; COMPUTE_PGM_RSRC2:TGID_X_EN: 1
; COMPUTE_PGM_RSRC2:TGID_Y_EN: 0
; COMPUTE_PGM_RSRC2:TGID_Z_EN: 0
; COMPUTE_PGM_RSRC2:TIDIG_COMP_CNT: 0
	.section	.text._Z30warp_striped_to_blocked_kernelIsiLj2106ELj9EEvPT_PT0_,"axG",@progbits,_Z30warp_striped_to_blocked_kernelIsiLj2106ELj9EEvPT_PT0_,comdat
	.protected	_Z30warp_striped_to_blocked_kernelIsiLj2106ELj9EEvPT_PT0_ ; -- Begin function _Z30warp_striped_to_blocked_kernelIsiLj2106ELj9EEvPT_PT0_
	.globl	_Z30warp_striped_to_blocked_kernelIsiLj2106ELj9EEvPT_PT0_
	.p2align	8
	.type	_Z30warp_striped_to_blocked_kernelIsiLj2106ELj9EEvPT_PT0_,@function
_Z30warp_striped_to_blocked_kernelIsiLj2106ELj9EEvPT_PT0_: ; @_Z30warp_striped_to_blocked_kernelIsiLj2106ELj9EEvPT_PT0_
; %bb.0:
	s_load_b128 s[0:3], s[0:1], 0x0
	s_bfe_u32 s4, ttmp6, 0x4000c
	s_and_b32 s5, ttmp6, 15
	s_add_co_i32 s4, s4, 1
	s_getreg_b32 s6, hwreg(HW_REG_IB_STS2, 6, 4)
	s_mul_i32 s4, ttmp9, s4
	v_mul_u32_u24_e32 v12, 9, v0
	s_add_co_i32 s5, s5, s4
	s_cmp_eq_u32 s6, 0
	v_mbcnt_lo_u32_b32 v7, -1, 0
	s_cselect_b32 s4, ttmp9, s5
	s_mov_b32 s5, 0
	s_mulk_i32 s4, 0x83a
	v_lshlrev_b32_e32 v1, 1, v12
	s_lshl_b64 s[6:7], s[4:5], 1
	s_wait_kmcnt 0x0
	s_add_nc_u64 s[0:1], s[0:1], s[6:7]
	s_clause 0x1
	global_load_b128 v[2:5], v1, s[0:1]
	global_load_u16 v6, v12, s[0:1] offset:16 scale_offset
	s_wait_xcnt 0x1
	v_lshrrev_b32_e32 v1, 6, v0
	v_and_b32_e32 v0, 0x1c0, v0
	s_wait_xcnt 0x0
	s_lshl_b64 s[0:1], s[4:5], 2
	s_delay_alu instid0(SALU_CYCLE_1) | instskip(SKIP_2) | instid1(VALU_DEP_2)
	s_add_nc_u64 s[0:1], s[2:3], s[0:1]
	v_mul_u32_u24_e32 v1, 0x240, v1
	v_cmp_eq_u32_e32 vcc_lo, 0xc0, v0
	v_or_b32_e32 v1, v7, v1
	v_cndmask_b32_e64 v0, 64, 42, vcc_lo
	s_delay_alu instid0(VALU_DEP_2) | instskip(NEXT) | instid1(VALU_DEP_1)
	v_lshlrev_b32_e32 v1, 1, v1
	v_lshl_add_u32 v7, v7, 4, v1
	s_delay_alu instid0(VALU_DEP_3)
	v_lshl_add_u32 v8, v0, 1, v1
	v_lshl_add_u32 v9, v0, 2, v1
	v_mad_u32_u24 v10, v0, 6, v1
	v_lshl_add_u32 v11, v0, 3, v1
	v_mad_u32_u24 v13, v0, 10, v1
	v_mad_u32_u24 v14, v0, 12, v1
	;; [unrolled: 1-line block ×3, first 2 shown]
	v_lshl_add_u32 v0, v0, 4, v1
	s_wait_loadcnt 0x1
	ds_store_b16 v1, v2
	ds_store_b16_d16_hi v8, v2
	ds_store_b16 v9, v3
	ds_store_b16_d16_hi v10, v3
	;; [unrolled: 2-line block ×4, first 2 shown]
	s_wait_loadcnt 0x0
	ds_store_b16 v0, v6
	; wave barrier
	ds_load_b128 v[0:3], v7
	ds_load_i16 v13, v7 offset:16
	s_wait_dscnt 0x1
	v_dual_lshlrev_b32 v14, 2, v12 :: v_dual_ashrrev_i32 v9, 16, v2
	v_bfe_i32 v8, v2, 0, 16
	v_ashrrev_i32_e32 v11, 16, v3
	v_bfe_i32 v10, v3, 0, 16
	v_ashrrev_i32_e32 v5, 16, v0
	;; [unrolled: 2-line block ×3, first 2 shown]
	v_bfe_i32 v6, v1, 0, 16
	s_clause 0x1
	global_store_b128 v14, v[8:11], s[0:1] offset:16
	global_store_b128 v14, v[4:7], s[0:1]
	s_wait_dscnt 0x0
	global_store_b32 v12, v13, s[0:1] offset:32 scale_offset
	s_endpgm
	.section	.rodata,"a",@progbits
	.p2align	6, 0x0
	.amdhsa_kernel _Z30warp_striped_to_blocked_kernelIsiLj2106ELj9EEvPT_PT0_
		.amdhsa_group_segment_fixed_size 4224
		.amdhsa_private_segment_fixed_size 0
		.amdhsa_kernarg_size 16
		.amdhsa_user_sgpr_count 2
		.amdhsa_user_sgpr_dispatch_ptr 0
		.amdhsa_user_sgpr_queue_ptr 0
		.amdhsa_user_sgpr_kernarg_segment_ptr 1
		.amdhsa_user_sgpr_dispatch_id 0
		.amdhsa_user_sgpr_kernarg_preload_length 0
		.amdhsa_user_sgpr_kernarg_preload_offset 0
		.amdhsa_user_sgpr_private_segment_size 0
		.amdhsa_wavefront_size32 1
		.amdhsa_uses_dynamic_stack 0
		.amdhsa_enable_private_segment 0
		.amdhsa_system_sgpr_workgroup_id_x 1
		.amdhsa_system_sgpr_workgroup_id_y 0
		.amdhsa_system_sgpr_workgroup_id_z 0
		.amdhsa_system_sgpr_workgroup_info 0
		.amdhsa_system_vgpr_workitem_id 0
		.amdhsa_next_free_vgpr 16
		.amdhsa_next_free_sgpr 8
		.amdhsa_named_barrier_count 0
		.amdhsa_reserve_vcc 1
		.amdhsa_float_round_mode_32 0
		.amdhsa_float_round_mode_16_64 0
		.amdhsa_float_denorm_mode_32 3
		.amdhsa_float_denorm_mode_16_64 3
		.amdhsa_fp16_overflow 0
		.amdhsa_memory_ordered 1
		.amdhsa_forward_progress 1
		.amdhsa_inst_pref_size 4
		.amdhsa_round_robin_scheduling 0
		.amdhsa_exception_fp_ieee_invalid_op 0
		.amdhsa_exception_fp_denorm_src 0
		.amdhsa_exception_fp_ieee_div_zero 0
		.amdhsa_exception_fp_ieee_overflow 0
		.amdhsa_exception_fp_ieee_underflow 0
		.amdhsa_exception_fp_ieee_inexact 0
		.amdhsa_exception_int_div_zero 0
	.end_amdhsa_kernel
	.section	.text._Z30warp_striped_to_blocked_kernelIsiLj2106ELj9EEvPT_PT0_,"axG",@progbits,_Z30warp_striped_to_blocked_kernelIsiLj2106ELj9EEvPT_PT0_,comdat
.Lfunc_end57:
	.size	_Z30warp_striped_to_blocked_kernelIsiLj2106ELj9EEvPT_PT0_, .Lfunc_end57-_Z30warp_striped_to_blocked_kernelIsiLj2106ELj9EEvPT_PT0_
                                        ; -- End function
	.set _Z30warp_striped_to_blocked_kernelIsiLj2106ELj9EEvPT_PT0_.num_vgpr, 16
	.set _Z30warp_striped_to_blocked_kernelIsiLj2106ELj9EEvPT_PT0_.num_agpr, 0
	.set _Z30warp_striped_to_blocked_kernelIsiLj2106ELj9EEvPT_PT0_.numbered_sgpr, 8
	.set _Z30warp_striped_to_blocked_kernelIsiLj2106ELj9EEvPT_PT0_.num_named_barrier, 0
	.set _Z30warp_striped_to_blocked_kernelIsiLj2106ELj9EEvPT_PT0_.private_seg_size, 0
	.set _Z30warp_striped_to_blocked_kernelIsiLj2106ELj9EEvPT_PT0_.uses_vcc, 1
	.set _Z30warp_striped_to_blocked_kernelIsiLj2106ELj9EEvPT_PT0_.uses_flat_scratch, 0
	.set _Z30warp_striped_to_blocked_kernelIsiLj2106ELj9EEvPT_PT0_.has_dyn_sized_stack, 0
	.set _Z30warp_striped_to_blocked_kernelIsiLj2106ELj9EEvPT_PT0_.has_recursion, 0
	.set _Z30warp_striped_to_blocked_kernelIsiLj2106ELj9EEvPT_PT0_.has_indirect_call, 0
	.section	.AMDGPU.csdata,"",@progbits
; Kernel info:
; codeLenInByte = 456
; TotalNumSgprs: 10
; NumVgprs: 16
; ScratchSize: 0
; MemoryBound: 0
; FloatMode: 240
; IeeeMode: 1
; LDSByteSize: 4224 bytes/workgroup (compile time only)
; SGPRBlocks: 0
; VGPRBlocks: 0
; NumSGPRsForWavesPerEU: 10
; NumVGPRsForWavesPerEU: 16
; NamedBarCnt: 0
; Occupancy: 16
; WaveLimiterHint : 0
; COMPUTE_PGM_RSRC2:SCRATCH_EN: 0
; COMPUTE_PGM_RSRC2:USER_SGPR: 2
; COMPUTE_PGM_RSRC2:TRAP_HANDLER: 0
; COMPUTE_PGM_RSRC2:TGID_X_EN: 1
; COMPUTE_PGM_RSRC2:TGID_Y_EN: 0
; COMPUTE_PGM_RSRC2:TGID_Z_EN: 0
; COMPUTE_PGM_RSRC2:TIDIG_COMP_CNT: 0
	.section	.text._Z30warp_striped_to_blocked_kernelItjLj300ELj3EEvPT_PT0_,"axG",@progbits,_Z30warp_striped_to_blocked_kernelItjLj300ELj3EEvPT_PT0_,comdat
	.protected	_Z30warp_striped_to_blocked_kernelItjLj300ELj3EEvPT_PT0_ ; -- Begin function _Z30warp_striped_to_blocked_kernelItjLj300ELj3EEvPT_PT0_
	.globl	_Z30warp_striped_to_blocked_kernelItjLj300ELj3EEvPT_PT0_
	.p2align	8
	.type	_Z30warp_striped_to_blocked_kernelItjLj300ELj3EEvPT_PT0_,@function
_Z30warp_striped_to_blocked_kernelItjLj300ELj3EEvPT_PT0_: ; @_Z30warp_striped_to_blocked_kernelItjLj300ELj3EEvPT_PT0_
; %bb.0:
	s_load_b128 s[0:3], s[0:1], 0x0
	s_bfe_u32 s4, ttmp6, 0x4000c
	s_and_b32 s5, ttmp6, 15
	s_add_co_i32 s4, s4, 1
	s_getreg_b32 s6, hwreg(HW_REG_IB_STS2, 6, 4)
	s_mul_i32 s4, ttmp9, s4
	v_mul_u32_u24_e32 v1, 3, v0
	s_add_co_i32 s5, s5, s4
	s_cmp_eq_u32 s6, 0
	v_mbcnt_lo_u32_b32 v5, -1, 0
	s_cselect_b32 s4, ttmp9, s5
	s_mov_b32 s5, 0
	s_mulk_i32 s4, 0x12c
	v_lshlrev_b32_e32 v2, 1, v1
	s_lshl_b64 s[6:7], s[4:5], 1
	s_wait_kmcnt 0x0
	s_add_nc_u64 s[0:1], s[0:1], s[6:7]
	s_clause 0x1
	global_load_b32 v3, v2, s[0:1]
	global_load_u16 v4, v1, s[0:1] offset:4 scale_offset
	s_wait_xcnt 0x1
	v_lshrrev_b32_e32 v2, 6, v0
	v_and_b32_e32 v0, 0x1c0, v0
	s_wait_xcnt 0x0
	s_lshl_b64 s[0:1], s[4:5], 2
	s_delay_alu instid0(SALU_CYCLE_1) | instskip(SKIP_2) | instid1(VALU_DEP_2)
	s_add_nc_u64 s[0:1], s[2:3], s[0:1]
	v_mul_u32_u24_e32 v2, 0xc0, v2
	v_cmp_eq_u32_e32 vcc_lo, 64, v0
	v_or_b32_e32 v2, v5, v2
	v_cndmask_b32_e64 v0, 64, 36, vcc_lo
	s_delay_alu instid0(VALU_DEP_2) | instskip(NEXT) | instid1(VALU_DEP_1)
	v_lshlrev_b32_e32 v2, 1, v2
	v_lshl_add_u32 v5, v5, 2, v2
	s_delay_alu instid0(VALU_DEP_3)
	v_lshl_add_u32 v6, v0, 1, v2
	v_lshl_add_u32 v0, v0, 2, v2
	s_wait_loadcnt 0x1
	ds_store_b16 v2, v3
	ds_store_b16_d16_hi v6, v3
	s_wait_loadcnt 0x0
	ds_store_b16 v0, v4
	; wave barrier
	ds_load_b32 v0, v5
	ds_load_u16 v2, v5 offset:4
	s_wait_dscnt 0x1
	v_dual_lshlrev_b32 v3, 2, v1 :: v_dual_lshrrev_b32 v1, 16, v0
	v_and_b32_e32 v0, 0xffff, v0
	s_wait_dscnt 0x0
	global_store_b96 v3, v[0:2], s[0:1]
	s_endpgm
	.section	.rodata,"a",@progbits
	.p2align	6, 0x0
	.amdhsa_kernel _Z30warp_striped_to_blocked_kernelItjLj300ELj3EEvPT_PT0_
		.amdhsa_group_segment_fixed_size 608
		.amdhsa_private_segment_fixed_size 0
		.amdhsa_kernarg_size 16
		.amdhsa_user_sgpr_count 2
		.amdhsa_user_sgpr_dispatch_ptr 0
		.amdhsa_user_sgpr_queue_ptr 0
		.amdhsa_user_sgpr_kernarg_segment_ptr 1
		.amdhsa_user_sgpr_dispatch_id 0
		.amdhsa_user_sgpr_kernarg_preload_length 0
		.amdhsa_user_sgpr_kernarg_preload_offset 0
		.amdhsa_user_sgpr_private_segment_size 0
		.amdhsa_wavefront_size32 1
		.amdhsa_uses_dynamic_stack 0
		.amdhsa_enable_private_segment 0
		.amdhsa_system_sgpr_workgroup_id_x 1
		.amdhsa_system_sgpr_workgroup_id_y 0
		.amdhsa_system_sgpr_workgroup_id_z 0
		.amdhsa_system_sgpr_workgroup_info 0
		.amdhsa_system_vgpr_workitem_id 0
		.amdhsa_next_free_vgpr 7
		.amdhsa_next_free_sgpr 8
		.amdhsa_named_barrier_count 0
		.amdhsa_reserve_vcc 1
		.amdhsa_float_round_mode_32 0
		.amdhsa_float_round_mode_16_64 0
		.amdhsa_float_denorm_mode_32 3
		.amdhsa_float_denorm_mode_16_64 3
		.amdhsa_fp16_overflow 0
		.amdhsa_memory_ordered 1
		.amdhsa_forward_progress 1
		.amdhsa_inst_pref_size 3
		.amdhsa_round_robin_scheduling 0
		.amdhsa_exception_fp_ieee_invalid_op 0
		.amdhsa_exception_fp_denorm_src 0
		.amdhsa_exception_fp_ieee_div_zero 0
		.amdhsa_exception_fp_ieee_overflow 0
		.amdhsa_exception_fp_ieee_underflow 0
		.amdhsa_exception_fp_ieee_inexact 0
		.amdhsa_exception_int_div_zero 0
	.end_amdhsa_kernel
	.section	.text._Z30warp_striped_to_blocked_kernelItjLj300ELj3EEvPT_PT0_,"axG",@progbits,_Z30warp_striped_to_blocked_kernelItjLj300ELj3EEvPT_PT0_,comdat
.Lfunc_end58:
	.size	_Z30warp_striped_to_blocked_kernelItjLj300ELj3EEvPT_PT0_, .Lfunc_end58-_Z30warp_striped_to_blocked_kernelItjLj300ELj3EEvPT_PT0_
                                        ; -- End function
	.set _Z30warp_striped_to_blocked_kernelItjLj300ELj3EEvPT_PT0_.num_vgpr, 7
	.set _Z30warp_striped_to_blocked_kernelItjLj300ELj3EEvPT_PT0_.num_agpr, 0
	.set _Z30warp_striped_to_blocked_kernelItjLj300ELj3EEvPT_PT0_.numbered_sgpr, 8
	.set _Z30warp_striped_to_blocked_kernelItjLj300ELj3EEvPT_PT0_.num_named_barrier, 0
	.set _Z30warp_striped_to_blocked_kernelItjLj300ELj3EEvPT_PT0_.private_seg_size, 0
	.set _Z30warp_striped_to_blocked_kernelItjLj300ELj3EEvPT_PT0_.uses_vcc, 1
	.set _Z30warp_striped_to_blocked_kernelItjLj300ELj3EEvPT_PT0_.uses_flat_scratch, 0
	.set _Z30warp_striped_to_blocked_kernelItjLj300ELj3EEvPT_PT0_.has_dyn_sized_stack, 0
	.set _Z30warp_striped_to_blocked_kernelItjLj300ELj3EEvPT_PT0_.has_recursion, 0
	.set _Z30warp_striped_to_blocked_kernelItjLj300ELj3EEvPT_PT0_.has_indirect_call, 0
	.section	.AMDGPU.csdata,"",@progbits
; Kernel info:
; codeLenInByte = 292
; TotalNumSgprs: 10
; NumVgprs: 7
; ScratchSize: 0
; MemoryBound: 0
; FloatMode: 240
; IeeeMode: 1
; LDSByteSize: 608 bytes/workgroup (compile time only)
; SGPRBlocks: 0
; VGPRBlocks: 0
; NumSGPRsForWavesPerEU: 10
; NumVGPRsForWavesPerEU: 7
; NamedBarCnt: 0
; Occupancy: 16
; WaveLimiterHint : 0
; COMPUTE_PGM_RSRC2:SCRATCH_EN: 0
; COMPUTE_PGM_RSRC2:USER_SGPR: 2
; COMPUTE_PGM_RSRC2:TRAP_HANDLER: 0
; COMPUTE_PGM_RSRC2:TGID_X_EN: 1
; COMPUTE_PGM_RSRC2:TGID_Y_EN: 0
; COMPUTE_PGM_RSRC2:TGID_Z_EN: 0
; COMPUTE_PGM_RSRC2:TIDIG_COMP_CNT: 0
	.section	.text._Z30warp_striped_to_blocked_kernelIc5dummyIdELj928ELj2EEvPT_PT0_,"axG",@progbits,_Z30warp_striped_to_blocked_kernelIc5dummyIdELj928ELj2EEvPT_PT0_,comdat
	.protected	_Z30warp_striped_to_blocked_kernelIc5dummyIdELj928ELj2EEvPT_PT0_ ; -- Begin function _Z30warp_striped_to_blocked_kernelIc5dummyIdELj928ELj2EEvPT_PT0_
	.globl	_Z30warp_striped_to_blocked_kernelIc5dummyIdELj928ELj2EEvPT_PT0_
	.p2align	8
	.type	_Z30warp_striped_to_blocked_kernelIc5dummyIdELj928ELj2EEvPT_PT0_,@function
_Z30warp_striped_to_blocked_kernelIc5dummyIdELj928ELj2EEvPT_PT0_: ; @_Z30warp_striped_to_blocked_kernelIc5dummyIdELj928ELj2EEvPT_PT0_
; %bb.0:
	s_load_b128 s[0:3], s[0:1], 0x0
	s_bfe_u32 s4, ttmp6, 0x4000c
	s_and_b32 s5, ttmp6, 15
	s_add_co_i32 s4, s4, 1
	s_getreg_b32 s6, hwreg(HW_REG_IB_STS2, 6, 4)
	s_mul_i32 s4, ttmp9, s4
	v_and_b32_e32 v3, 0x1c0, v0
	s_add_co_i32 s5, s5, s4
	s_cmp_eq_u32 s6, 0
	v_mbcnt_lo_u32_b32 v4, -1, 0
	s_cselect_b32 s4, ttmp9, s5
	s_mov_b32 s5, 0
	s_mulk_i32 s4, 0x3a0
	v_cmp_eq_u32_e32 vcc_lo, 0x1c0, v3
	v_cndmask_b32_e64 v5, 64, 16, vcc_lo
	v_lshlrev_b32_e32 v2, 1, v0
	s_wait_kmcnt 0x0
	s_add_nc_u64 s[0:1], s[0:1], s[4:5]
	global_load_u16 v1, v0, s[0:1] scale_offset
	s_wait_xcnt 0x0
	v_lshlrev_b32_e32 v0, 5, v0
	v_and_b32_e32 v2, 0x380, v2
	s_lshl_b64 s[0:1], s[4:5], 4
	s_delay_alu instid0(SALU_CYCLE_1) | instskip(NEXT) | instid1(VALU_DEP_1)
	s_add_nc_u64 s[0:1], s[2:3], s[0:1]
	v_or_b32_e32 v6, v4, v2
	v_dual_lshrrev_b32 v3, 4, v3 :: v_dual_bitop2_b32 v4, v4, v3 bitop3:0x54
	s_delay_alu instid0(VALU_DEP_2) | instskip(NEXT) | instid1(VALU_DEP_2)
	v_add_nc_u32_e32 v5, v6, v5
	v_lshl_add_u32 v3, v4, 1, v3
	s_delay_alu instid0(VALU_DEP_2) | instskip(NEXT) | instid1(VALU_DEP_1)
	v_dual_lshrrev_b32 v7, 5, v5 :: v_dual_lshrrev_b32 v2, 5, v2
	v_dual_add_nc_u32 v2, v2, v6 :: v_dual_bitop2_b32 v7, 28, v7 bitop3:0x40
	s_delay_alu instid0(VALU_DEP_1)
	v_add_nc_u32_e32 v5, v7, v5
	s_wait_loadcnt 0x0
	v_lshrrev_b16 v6, 8, v1
	ds_store_b8 v2, v1
	ds_store_b8 v5, v6
	; wave barrier
	ds_load_u16 v1, v3
	s_wait_dscnt 0x0
	v_lshrrev_b16 v2, 8, v1
	v_bfe_i32 v1, v1, 0, 8
	s_delay_alu instid0(VALU_DEP_2) | instskip(NEXT) | instid1(VALU_DEP_2)
	v_bfe_i32 v2, v2, 0, 8
	v_dual_add_nc_u32 v3, 1, v1 :: v_dual_lshlrev_b32 v1, 1, v1
	s_delay_alu instid0(VALU_DEP_2) | instskip(NEXT) | instid1(VALU_DEP_2)
	v_dual_add_nc_u32 v6, 1, v2 :: v_dual_lshlrev_b32 v8, 1, v2
	v_cvt_f64_i32_e32 v[2:3], v3
	s_delay_alu instid0(VALU_DEP_3) | instskip(NEXT) | instid1(VALU_DEP_3)
	v_cvt_f64_i32_e32 v[4:5], v1
	v_cvt_f64_i32_e32 v[6:7], v6
	s_delay_alu instid0(VALU_DEP_4)
	v_cvt_f64_i32_e32 v[8:9], v8
	s_clause 0x1
	global_store_b128 v0, v[2:5], s[0:1]
	global_store_b128 v0, v[6:9], s[0:1] offset:16
	s_endpgm
	.section	.rodata,"a",@progbits
	.p2align	6, 0x0
	.amdhsa_kernel _Z30warp_striped_to_blocked_kernelIc5dummyIdELj928ELj2EEvPT_PT0_
		.amdhsa_group_segment_fixed_size 960
		.amdhsa_private_segment_fixed_size 0
		.amdhsa_kernarg_size 16
		.amdhsa_user_sgpr_count 2
		.amdhsa_user_sgpr_dispatch_ptr 0
		.amdhsa_user_sgpr_queue_ptr 0
		.amdhsa_user_sgpr_kernarg_segment_ptr 1
		.amdhsa_user_sgpr_dispatch_id 0
		.amdhsa_user_sgpr_kernarg_preload_length 0
		.amdhsa_user_sgpr_kernarg_preload_offset 0
		.amdhsa_user_sgpr_private_segment_size 0
		.amdhsa_wavefront_size32 1
		.amdhsa_uses_dynamic_stack 0
		.amdhsa_enable_private_segment 0
		.amdhsa_system_sgpr_workgroup_id_x 1
		.amdhsa_system_sgpr_workgroup_id_y 0
		.amdhsa_system_sgpr_workgroup_id_z 0
		.amdhsa_system_sgpr_workgroup_info 0
		.amdhsa_system_vgpr_workitem_id 0
		.amdhsa_next_free_vgpr 10
		.amdhsa_next_free_sgpr 7
		.amdhsa_named_barrier_count 0
		.amdhsa_reserve_vcc 1
		.amdhsa_float_round_mode_32 0
		.amdhsa_float_round_mode_16_64 0
		.amdhsa_float_denorm_mode_32 3
		.amdhsa_float_denorm_mode_16_64 3
		.amdhsa_fp16_overflow 0
		.amdhsa_memory_ordered 1
		.amdhsa_forward_progress 1
		.amdhsa_inst_pref_size 3
		.amdhsa_round_robin_scheduling 0
		.amdhsa_exception_fp_ieee_invalid_op 0
		.amdhsa_exception_fp_denorm_src 0
		.amdhsa_exception_fp_ieee_div_zero 0
		.amdhsa_exception_fp_ieee_overflow 0
		.amdhsa_exception_fp_ieee_underflow 0
		.amdhsa_exception_fp_ieee_inexact 0
		.amdhsa_exception_int_div_zero 0
	.end_amdhsa_kernel
	.section	.text._Z30warp_striped_to_blocked_kernelIc5dummyIdELj928ELj2EEvPT_PT0_,"axG",@progbits,_Z30warp_striped_to_blocked_kernelIc5dummyIdELj928ELj2EEvPT_PT0_,comdat
.Lfunc_end59:
	.size	_Z30warp_striped_to_blocked_kernelIc5dummyIdELj928ELj2EEvPT_PT0_, .Lfunc_end59-_Z30warp_striped_to_blocked_kernelIc5dummyIdELj928ELj2EEvPT_PT0_
                                        ; -- End function
	.set _Z30warp_striped_to_blocked_kernelIc5dummyIdELj928ELj2EEvPT_PT0_.num_vgpr, 10
	.set _Z30warp_striped_to_blocked_kernelIc5dummyIdELj928ELj2EEvPT_PT0_.num_agpr, 0
	.set _Z30warp_striped_to_blocked_kernelIc5dummyIdELj928ELj2EEvPT_PT0_.numbered_sgpr, 7
	.set _Z30warp_striped_to_blocked_kernelIc5dummyIdELj928ELj2EEvPT_PT0_.num_named_barrier, 0
	.set _Z30warp_striped_to_blocked_kernelIc5dummyIdELj928ELj2EEvPT_PT0_.private_seg_size, 0
	.set _Z30warp_striped_to_blocked_kernelIc5dummyIdELj928ELj2EEvPT_PT0_.uses_vcc, 1
	.set _Z30warp_striped_to_blocked_kernelIc5dummyIdELj928ELj2EEvPT_PT0_.uses_flat_scratch, 0
	.set _Z30warp_striped_to_blocked_kernelIc5dummyIdELj928ELj2EEvPT_PT0_.has_dyn_sized_stack, 0
	.set _Z30warp_striped_to_blocked_kernelIc5dummyIdELj928ELj2EEvPT_PT0_.has_recursion, 0
	.set _Z30warp_striped_to_blocked_kernelIc5dummyIdELj928ELj2EEvPT_PT0_.has_indirect_call, 0
	.section	.AMDGPU.csdata,"",@progbits
; Kernel info:
; codeLenInByte = 356
; TotalNumSgprs: 9
; NumVgprs: 10
; ScratchSize: 0
; MemoryBound: 0
; FloatMode: 240
; IeeeMode: 1
; LDSByteSize: 960 bytes/workgroup (compile time only)
; SGPRBlocks: 0
; VGPRBlocks: 0
; NumSGPRsForWavesPerEU: 9
; NumVGPRsForWavesPerEU: 10
; NamedBarCnt: 0
; Occupancy: 16
; WaveLimiterHint : 0
; COMPUTE_PGM_RSRC2:SCRATCH_EN: 0
; COMPUTE_PGM_RSRC2:USER_SGPR: 2
; COMPUTE_PGM_RSRC2:TRAP_HANDLER: 0
; COMPUTE_PGM_RSRC2:TGID_X_EN: 1
; COMPUTE_PGM_RSRC2:TGID_Y_EN: 0
; COMPUTE_PGM_RSRC2:TGID_Z_EN: 0
; COMPUTE_PGM_RSRC2:TIDIG_COMP_CNT: 0
	.section	.text._Z30warp_striped_to_blocked_kernelIfiLj165ELj5EEvPT_PT0_,"axG",@progbits,_Z30warp_striped_to_blocked_kernelIfiLj165ELj5EEvPT_PT0_,comdat
	.protected	_Z30warp_striped_to_blocked_kernelIfiLj165ELj5EEvPT_PT0_ ; -- Begin function _Z30warp_striped_to_blocked_kernelIfiLj165ELj5EEvPT_PT0_
	.globl	_Z30warp_striped_to_blocked_kernelIfiLj165ELj5EEvPT_PT0_
	.p2align	8
	.type	_Z30warp_striped_to_blocked_kernelIfiLj165ELj5EEvPT_PT0_,@function
_Z30warp_striped_to_blocked_kernelIfiLj165ELj5EEvPT_PT0_: ; @_Z30warp_striped_to_blocked_kernelIfiLj165ELj5EEvPT_PT0_
; %bb.0:
	s_load_b128 s[0:3], s[0:1], 0x0
	s_bfe_u32 s4, ttmp6, 0x4000c
	s_and_b32 s5, ttmp6, 15
	s_add_co_i32 s4, s4, 1
	s_getreg_b32 s6, hwreg(HW_REG_IB_STS2, 6, 4)
	s_mul_i32 s4, ttmp9, s4
	v_mul_u32_u24_e32 v6, 5, v0
	s_add_co_i32 s5, s5, s4
	s_cmp_eq_u32 s6, 0
	v_lshrrev_b32_e32 v8, 6, v0
	s_cselect_b32 s4, ttmp9, s5
	s_mov_b32 s5, 0
	s_mulk_i32 s4, 0xa5
	v_lshlrev_b32_e32 v7, 2, v6
	s_lshl_b64 s[4:5], s[4:5], 2
	v_mbcnt_lo_u32_b32 v9, -1, 0
	v_mul_u32_u24_e32 v8, 0x140, v8
	v_cmp_gt_u32_e32 vcc_lo, 64, v0
	s_wait_kmcnt 0x0
	s_add_nc_u64 s[0:1], s[0:1], s[4:5]
	s_delay_alu instid0(VALU_DEP_2)
	v_or_b32_e32 v8, v9, v8
	s_clause 0x1
	global_load_b128 v[2:5], v7, s[0:1]
	global_load_b32 v1, v6, s[0:1] offset:16 scale_offset
	v_cndmask_b32_e64 v0, 64, 33, vcc_lo
	s_wait_xcnt 0x0
	s_add_nc_u64 s[0:1], s[2:3], s[4:5]
	v_lshlrev_b32_e32 v8, 2, v8
	s_delay_alu instid0(VALU_DEP_1)
	v_lshl_add_u32 v9, v9, 4, v8
	v_lshl_add_u32 v10, v0, 2, v8
	;; [unrolled: 1-line block ×3, first 2 shown]
	v_mad_u32_u24 v12, v0, 12, v8
	v_lshl_add_u32 v0, v0, 4, v8
	s_wait_loadcnt 0x1
	ds_store_b32 v8, v2
	ds_store_b32 v10, v3
	;; [unrolled: 1-line block ×4, first 2 shown]
	s_wait_loadcnt 0x0
	ds_store_b32 v0, v1
	; wave barrier
	ds_load_2addr_b32 v[0:1], v9 offset1:1
	ds_load_2addr_b32 v[2:3], v9 offset0:2 offset1:3
	ds_load_b32 v4, v9 offset:16
	s_wait_dscnt 0x2
	v_cvt_i32_f32_e32 v1, v1
	v_cvt_i32_f32_e32 v0, v0
	s_wait_dscnt 0x1
	v_cvt_i32_f32_e32 v3, v3
	v_cvt_i32_f32_e32 v2, v2
	s_wait_dscnt 0x0
	v_cvt_i32_f32_e32 v4, v4
	s_clause 0x1
	global_store_b128 v7, v[0:3], s[0:1]
	global_store_b32 v6, v4, s[0:1] offset:16 scale_offset
	s_endpgm
	.section	.rodata,"a",@progbits
	.p2align	6, 0x0
	.amdhsa_kernel _Z30warp_striped_to_blocked_kernelIfiLj165ELj5EEvPT_PT0_
		.amdhsa_group_segment_fixed_size 672
		.amdhsa_private_segment_fixed_size 0
		.amdhsa_kernarg_size 16
		.amdhsa_user_sgpr_count 2
		.amdhsa_user_sgpr_dispatch_ptr 0
		.amdhsa_user_sgpr_queue_ptr 0
		.amdhsa_user_sgpr_kernarg_segment_ptr 1
		.amdhsa_user_sgpr_dispatch_id 0
		.amdhsa_user_sgpr_kernarg_preload_length 0
		.amdhsa_user_sgpr_kernarg_preload_offset 0
		.amdhsa_user_sgpr_private_segment_size 0
		.amdhsa_wavefront_size32 1
		.amdhsa_uses_dynamic_stack 0
		.amdhsa_enable_private_segment 0
		.amdhsa_system_sgpr_workgroup_id_x 1
		.amdhsa_system_sgpr_workgroup_id_y 0
		.amdhsa_system_sgpr_workgroup_id_z 0
		.amdhsa_system_sgpr_workgroup_info 0
		.amdhsa_system_vgpr_workitem_id 0
		.amdhsa_next_free_vgpr 13
		.amdhsa_next_free_sgpr 7
		.amdhsa_named_barrier_count 0
		.amdhsa_reserve_vcc 1
		.amdhsa_float_round_mode_32 0
		.amdhsa_float_round_mode_16_64 0
		.amdhsa_float_denorm_mode_32 3
		.amdhsa_float_denorm_mode_16_64 3
		.amdhsa_fp16_overflow 0
		.amdhsa_memory_ordered 1
		.amdhsa_forward_progress 1
		.amdhsa_inst_pref_size 3
		.amdhsa_round_robin_scheduling 0
		.amdhsa_exception_fp_ieee_invalid_op 0
		.amdhsa_exception_fp_denorm_src 0
		.amdhsa_exception_fp_ieee_div_zero 0
		.amdhsa_exception_fp_ieee_overflow 0
		.amdhsa_exception_fp_ieee_underflow 0
		.amdhsa_exception_fp_ieee_inexact 0
		.amdhsa_exception_int_div_zero 0
	.end_amdhsa_kernel
	.section	.text._Z30warp_striped_to_blocked_kernelIfiLj165ELj5EEvPT_PT0_,"axG",@progbits,_Z30warp_striped_to_blocked_kernelIfiLj165ELj5EEvPT_PT0_,comdat
.Lfunc_end60:
	.size	_Z30warp_striped_to_blocked_kernelIfiLj165ELj5EEvPT_PT0_, .Lfunc_end60-_Z30warp_striped_to_blocked_kernelIfiLj165ELj5EEvPT_PT0_
                                        ; -- End function
	.set _Z30warp_striped_to_blocked_kernelIfiLj165ELj5EEvPT_PT0_.num_vgpr, 13
	.set _Z30warp_striped_to_blocked_kernelIfiLj165ELj5EEvPT_PT0_.num_agpr, 0
	.set _Z30warp_striped_to_blocked_kernelIfiLj165ELj5EEvPT_PT0_.numbered_sgpr, 7
	.set _Z30warp_striped_to_blocked_kernelIfiLj165ELj5EEvPT_PT0_.num_named_barrier, 0
	.set _Z30warp_striped_to_blocked_kernelIfiLj165ELj5EEvPT_PT0_.private_seg_size, 0
	.set _Z30warp_striped_to_blocked_kernelIfiLj165ELj5EEvPT_PT0_.uses_vcc, 1
	.set _Z30warp_striped_to_blocked_kernelIfiLj165ELj5EEvPT_PT0_.uses_flat_scratch, 0
	.set _Z30warp_striped_to_blocked_kernelIfiLj165ELj5EEvPT_PT0_.has_dyn_sized_stack, 0
	.set _Z30warp_striped_to_blocked_kernelIfiLj165ELj5EEvPT_PT0_.has_recursion, 0
	.set _Z30warp_striped_to_blocked_kernelIfiLj165ELj5EEvPT_PT0_.has_indirect_call, 0
	.section	.AMDGPU.csdata,"",@progbits
; Kernel info:
; codeLenInByte = 332
; TotalNumSgprs: 9
; NumVgprs: 13
; ScratchSize: 0
; MemoryBound: 0
; FloatMode: 240
; IeeeMode: 1
; LDSByteSize: 672 bytes/workgroup (compile time only)
; SGPRBlocks: 0
; VGPRBlocks: 0
; NumSGPRsForWavesPerEU: 9
; NumVGPRsForWavesPerEU: 13
; NamedBarCnt: 0
; Occupancy: 16
; WaveLimiterHint : 0
; COMPUTE_PGM_RSRC2:SCRATCH_EN: 0
; COMPUTE_PGM_RSRC2:USER_SGPR: 2
; COMPUTE_PGM_RSRC2:TRAP_HANDLER: 0
; COMPUTE_PGM_RSRC2:TGID_X_EN: 1
; COMPUTE_PGM_RSRC2:TGID_Y_EN: 0
; COMPUTE_PGM_RSRC2:TGID_Z_EN: 0
; COMPUTE_PGM_RSRC2:TIDIG_COMP_CNT: 0
	.section	.text._Z30warp_striped_to_blocked_kernelIidLj165ELj5EEvPT_PT0_,"axG",@progbits,_Z30warp_striped_to_blocked_kernelIidLj165ELj5EEvPT_PT0_,comdat
	.protected	_Z30warp_striped_to_blocked_kernelIidLj165ELj5EEvPT_PT0_ ; -- Begin function _Z30warp_striped_to_blocked_kernelIidLj165ELj5EEvPT_PT0_
	.globl	_Z30warp_striped_to_blocked_kernelIidLj165ELj5EEvPT_PT0_
	.p2align	8
	.type	_Z30warp_striped_to_blocked_kernelIidLj165ELj5EEvPT_PT0_,@function
_Z30warp_striped_to_blocked_kernelIidLj165ELj5EEvPT_PT0_: ; @_Z30warp_striped_to_blocked_kernelIidLj165ELj5EEvPT_PT0_
; %bb.0:
	s_load_b128 s[0:3], s[0:1], 0x0
	s_bfe_u32 s4, ttmp6, 0x4000c
	s_and_b32 s5, ttmp6, 15
	s_add_co_i32 s4, s4, 1
	s_getreg_b32 s6, hwreg(HW_REG_IB_STS2, 6, 4)
	s_mul_i32 s4, ttmp9, s4
	v_mul_u32_u24_e32 v10, 5, v0
	s_add_co_i32 s5, s5, s4
	s_cmp_eq_u32 s6, 0
	v_mbcnt_lo_u32_b32 v7, -1, 0
	s_cselect_b32 s4, ttmp9, s5
	s_mov_b32 s5, 0
	s_mulk_i32 s4, 0xa5
	v_lshlrev_b32_e32 v1, 2, v10
	s_lshl_b64 s[6:7], s[4:5], 2
	v_cmp_gt_u32_e32 vcc_lo, 64, v0
	s_wait_kmcnt 0x0
	s_add_nc_u64 s[0:1], s[0:1], s[6:7]
	s_clause 0x1
	global_load_b128 v[2:5], v1, s[0:1]
	global_load_b32 v6, v10, s[0:1] offset:16 scale_offset
	s_wait_xcnt 0x1
	v_lshrrev_b32_e32 v1, 6, v0
	v_cndmask_b32_e64 v0, 64, 33, vcc_lo
	s_wait_xcnt 0x0
	s_lshl_b64 s[0:1], s[4:5], 3
	s_delay_alu instid0(SALU_CYCLE_1) | instskip(SKIP_1) | instid1(VALU_DEP_1)
	s_add_nc_u64 s[0:1], s[2:3], s[0:1]
	v_mul_u32_u24_e32 v1, 0x140, v1
	v_or_b32_e32 v1, v7, v1
	s_delay_alu instid0(VALU_DEP_1) | instskip(NEXT) | instid1(VALU_DEP_1)
	v_lshlrev_b32_e32 v1, 2, v1
	v_lshl_add_u32 v12, v7, 4, v1
	v_lshl_add_u32 v8, v0, 2, v1
	;; [unrolled: 1-line block ×3, first 2 shown]
	v_mad_u32_u24 v11, v0, 12, v1
	v_lshl_add_u32 v0, v0, 4, v1
	s_wait_loadcnt 0x1
	ds_store_b32 v1, v2
	ds_store_b32 v8, v3
	;; [unrolled: 1-line block ×4, first 2 shown]
	s_wait_loadcnt 0x0
	ds_store_b32 v0, v6
	; wave barrier
	ds_load_2addr_b32 v[2:3], v12 offset1:1
	ds_load_2addr_b32 v[6:7], v12 offset0:2 offset1:3
	ds_load_b32 v8, v12 offset:16
	v_lshlrev_b32_e32 v11, 3, v10
	s_wait_dscnt 0x2
	v_cvt_f64_i32_e32 v[0:1], v2
	s_wait_dscnt 0x1
	v_cvt_f64_i32_e32 v[4:5], v6
	v_cvt_f64_i32_e32 v[6:7], v7
	;; [unrolled: 1-line block ×3, first 2 shown]
	s_wait_dscnt 0x0
	v_cvt_f64_i32_e32 v[8:9], v8
	s_clause 0x2
	global_store_b128 v11, v[4:7], s[0:1] offset:16
	global_store_b128 v11, v[0:3], s[0:1]
	global_store_b64 v10, v[8:9], s[0:1] offset:32 scale_offset
	s_endpgm
	.section	.rodata,"a",@progbits
	.p2align	6, 0x0
	.amdhsa_kernel _Z30warp_striped_to_blocked_kernelIidLj165ELj5EEvPT_PT0_
		.amdhsa_group_segment_fixed_size 672
		.amdhsa_private_segment_fixed_size 0
		.amdhsa_kernarg_size 16
		.amdhsa_user_sgpr_count 2
		.amdhsa_user_sgpr_dispatch_ptr 0
		.amdhsa_user_sgpr_queue_ptr 0
		.amdhsa_user_sgpr_kernarg_segment_ptr 1
		.amdhsa_user_sgpr_dispatch_id 0
		.amdhsa_user_sgpr_kernarg_preload_length 0
		.amdhsa_user_sgpr_kernarg_preload_offset 0
		.amdhsa_user_sgpr_private_segment_size 0
		.amdhsa_wavefront_size32 1
		.amdhsa_uses_dynamic_stack 0
		.amdhsa_enable_private_segment 0
		.amdhsa_system_sgpr_workgroup_id_x 1
		.amdhsa_system_sgpr_workgroup_id_y 0
		.amdhsa_system_sgpr_workgroup_id_z 0
		.amdhsa_system_sgpr_workgroup_info 0
		.amdhsa_system_vgpr_workitem_id 0
		.amdhsa_next_free_vgpr 13
		.amdhsa_next_free_sgpr 8
		.amdhsa_named_barrier_count 0
		.amdhsa_reserve_vcc 1
		.amdhsa_float_round_mode_32 0
		.amdhsa_float_round_mode_16_64 0
		.amdhsa_float_denorm_mode_32 3
		.amdhsa_float_denorm_mode_16_64 3
		.amdhsa_fp16_overflow 0
		.amdhsa_memory_ordered 1
		.amdhsa_forward_progress 1
		.amdhsa_inst_pref_size 3
		.amdhsa_round_robin_scheduling 0
		.amdhsa_exception_fp_ieee_invalid_op 0
		.amdhsa_exception_fp_denorm_src 0
		.amdhsa_exception_fp_ieee_div_zero 0
		.amdhsa_exception_fp_ieee_overflow 0
		.amdhsa_exception_fp_ieee_underflow 0
		.amdhsa_exception_fp_ieee_inexact 0
		.amdhsa_exception_int_div_zero 0
	.end_amdhsa_kernel
	.section	.text._Z30warp_striped_to_blocked_kernelIidLj165ELj5EEvPT_PT0_,"axG",@progbits,_Z30warp_striped_to_blocked_kernelIidLj165ELj5EEvPT_PT0_,comdat
.Lfunc_end61:
	.size	_Z30warp_striped_to_blocked_kernelIidLj165ELj5EEvPT_PT0_, .Lfunc_end61-_Z30warp_striped_to_blocked_kernelIidLj165ELj5EEvPT_PT0_
                                        ; -- End function
	.set _Z30warp_striped_to_blocked_kernelIidLj165ELj5EEvPT_PT0_.num_vgpr, 13
	.set _Z30warp_striped_to_blocked_kernelIidLj165ELj5EEvPT_PT0_.num_agpr, 0
	.set _Z30warp_striped_to_blocked_kernelIidLj165ELj5EEvPT_PT0_.numbered_sgpr, 8
	.set _Z30warp_striped_to_blocked_kernelIidLj165ELj5EEvPT_PT0_.num_named_barrier, 0
	.set _Z30warp_striped_to_blocked_kernelIidLj165ELj5EEvPT_PT0_.private_seg_size, 0
	.set _Z30warp_striped_to_blocked_kernelIidLj165ELj5EEvPT_PT0_.uses_vcc, 1
	.set _Z30warp_striped_to_blocked_kernelIidLj165ELj5EEvPT_PT0_.uses_flat_scratch, 0
	.set _Z30warp_striped_to_blocked_kernelIidLj165ELj5EEvPT_PT0_.has_dyn_sized_stack, 0
	.set _Z30warp_striped_to_blocked_kernelIidLj165ELj5EEvPT_PT0_.has_recursion, 0
	.set _Z30warp_striped_to_blocked_kernelIidLj165ELj5EEvPT_PT0_.has_indirect_call, 0
	.section	.AMDGPU.csdata,"",@progbits
; Kernel info:
; codeLenInByte = 356
; TotalNumSgprs: 10
; NumVgprs: 13
; ScratchSize: 0
; MemoryBound: 0
; FloatMode: 240
; IeeeMode: 1
; LDSByteSize: 672 bytes/workgroup (compile time only)
; SGPRBlocks: 0
; VGPRBlocks: 0
; NumSGPRsForWavesPerEU: 10
; NumVGPRsForWavesPerEU: 13
; NamedBarCnt: 0
; Occupancy: 16
; WaveLimiterHint : 0
; COMPUTE_PGM_RSRC2:SCRATCH_EN: 0
; COMPUTE_PGM_RSRC2:USER_SGPR: 2
; COMPUTE_PGM_RSRC2:TRAP_HANDLER: 0
; COMPUTE_PGM_RSRC2:TGID_X_EN: 1
; COMPUTE_PGM_RSRC2:TGID_Y_EN: 0
; COMPUTE_PGM_RSRC2:TGID_Z_EN: 0
; COMPUTE_PGM_RSRC2:TIDIG_COMP_CNT: 0
	.section	.text._Z30warp_striped_to_blocked_kernelIyyLj192ELj3EEvPT_PT0_,"axG",@progbits,_Z30warp_striped_to_blocked_kernelIyyLj192ELj3EEvPT_PT0_,comdat
	.protected	_Z30warp_striped_to_blocked_kernelIyyLj192ELj3EEvPT_PT0_ ; -- Begin function _Z30warp_striped_to_blocked_kernelIyyLj192ELj3EEvPT_PT0_
	.globl	_Z30warp_striped_to_blocked_kernelIyyLj192ELj3EEvPT_PT0_
	.p2align	8
	.type	_Z30warp_striped_to_blocked_kernelIyyLj192ELj3EEvPT_PT0_,@function
_Z30warp_striped_to_blocked_kernelIyyLj192ELj3EEvPT_PT0_: ; @_Z30warp_striped_to_blocked_kernelIyyLj192ELj3EEvPT_PT0_
; %bb.0:
	s_load_b128 s[0:3], s[0:1], 0x0
	s_bfe_u32 s4, ttmp6, 0x4000c
	s_and_b32 s5, ttmp6, 15
	s_add_co_i32 s4, s4, 1
	s_getreg_b32 s6, hwreg(HW_REG_IB_STS2, 6, 4)
	s_mul_i32 s4, ttmp9, s4
	v_mul_u32_u24_e32 v8, 3, v0
	s_add_co_i32 s5, s5, s4
	s_cmp_eq_u32 s6, 0
	v_lshrrev_b32_e32 v0, 6, v0
	s_cselect_b32 s4, ttmp9, s5
	s_mov_b32 s5, 0
	s_mulk_i32 s4, 0xc0
	v_lshlrev_b32_e32 v9, 3, v8
	s_lshl_b64 s[4:5], s[4:5], 3
	v_mbcnt_lo_u32_b32 v1, -1, 0
	v_mul_u32_u24_e32 v0, 0xc0, v0
	s_wait_kmcnt 0x0
	s_add_nc_u64 s[0:1], s[0:1], s[4:5]
	s_delay_alu instid0(VALU_DEP_1)
	v_or_b32_e32 v0, v1, v0
	s_clause 0x1
	global_load_b128 v[2:5], v9, s[0:1]
	global_load_b64 v[6:7], v8, s[0:1] offset:16 scale_offset
	s_wait_xcnt 0x0
	s_add_nc_u64 s[0:1], s[2:3], s[4:5]
	v_lshlrev_b32_e32 v0, 3, v0
	s_wait_loadcnt 0x1
	ds_store_2addr_stride64_b64 v0, v[2:3], v[4:5] offset1:1
	s_wait_loadcnt 0x0
	ds_store_b64 v0, v[6:7] offset:1024
	v_lshl_add_u32 v10, v1, 4, v0
	; wave barrier
	ds_load_2addr_b64 v[0:3], v10 offset1:1
	ds_load_b64 v[4:5], v10 offset:16
	s_wait_dscnt 0x1
	global_store_b128 v9, v[0:3], s[0:1]
	s_wait_dscnt 0x0
	global_store_b64 v8, v[4:5], s[0:1] offset:16 scale_offset
	s_endpgm
	.section	.rodata,"a",@progbits
	.p2align	6, 0x0
	.amdhsa_kernel _Z30warp_striped_to_blocked_kernelIyyLj192ELj3EEvPT_PT0_
		.amdhsa_group_segment_fixed_size 1536
		.amdhsa_private_segment_fixed_size 0
		.amdhsa_kernarg_size 16
		.amdhsa_user_sgpr_count 2
		.amdhsa_user_sgpr_dispatch_ptr 0
		.amdhsa_user_sgpr_queue_ptr 0
		.amdhsa_user_sgpr_kernarg_segment_ptr 1
		.amdhsa_user_sgpr_dispatch_id 0
		.amdhsa_user_sgpr_kernarg_preload_length 0
		.amdhsa_user_sgpr_kernarg_preload_offset 0
		.amdhsa_user_sgpr_private_segment_size 0
		.amdhsa_wavefront_size32 1
		.amdhsa_uses_dynamic_stack 0
		.amdhsa_enable_private_segment 0
		.amdhsa_system_sgpr_workgroup_id_x 1
		.amdhsa_system_sgpr_workgroup_id_y 0
		.amdhsa_system_sgpr_workgroup_id_z 0
		.amdhsa_system_sgpr_workgroup_info 0
		.amdhsa_system_vgpr_workitem_id 0
		.amdhsa_next_free_vgpr 11
		.amdhsa_next_free_sgpr 7
		.amdhsa_named_barrier_count 0
		.amdhsa_reserve_vcc 0
		.amdhsa_float_round_mode_32 0
		.amdhsa_float_round_mode_16_64 0
		.amdhsa_float_denorm_mode_32 3
		.amdhsa_float_denorm_mode_16_64 3
		.amdhsa_fp16_overflow 0
		.amdhsa_memory_ordered 1
		.amdhsa_forward_progress 1
		.amdhsa_inst_pref_size 2
		.amdhsa_round_robin_scheduling 0
		.amdhsa_exception_fp_ieee_invalid_op 0
		.amdhsa_exception_fp_denorm_src 0
		.amdhsa_exception_fp_ieee_div_zero 0
		.amdhsa_exception_fp_ieee_overflow 0
		.amdhsa_exception_fp_ieee_underflow 0
		.amdhsa_exception_fp_ieee_inexact 0
		.amdhsa_exception_int_div_zero 0
	.end_amdhsa_kernel
	.section	.text._Z30warp_striped_to_blocked_kernelIyyLj192ELj3EEvPT_PT0_,"axG",@progbits,_Z30warp_striped_to_blocked_kernelIyyLj192ELj3EEvPT_PT0_,comdat
.Lfunc_end62:
	.size	_Z30warp_striped_to_blocked_kernelIyyLj192ELj3EEvPT_PT0_, .Lfunc_end62-_Z30warp_striped_to_blocked_kernelIyyLj192ELj3EEvPT_PT0_
                                        ; -- End function
	.set _Z30warp_striped_to_blocked_kernelIyyLj192ELj3EEvPT_PT0_.num_vgpr, 11
	.set _Z30warp_striped_to_blocked_kernelIyyLj192ELj3EEvPT_PT0_.num_agpr, 0
	.set _Z30warp_striped_to_blocked_kernelIyyLj192ELj3EEvPT_PT0_.numbered_sgpr, 7
	.set _Z30warp_striped_to_blocked_kernelIyyLj192ELj3EEvPT_PT0_.num_named_barrier, 0
	.set _Z30warp_striped_to_blocked_kernelIyyLj192ELj3EEvPT_PT0_.private_seg_size, 0
	.set _Z30warp_striped_to_blocked_kernelIyyLj192ELj3EEvPT_PT0_.uses_vcc, 0
	.set _Z30warp_striped_to_blocked_kernelIyyLj192ELj3EEvPT_PT0_.uses_flat_scratch, 0
	.set _Z30warp_striped_to_blocked_kernelIyyLj192ELj3EEvPT_PT0_.has_dyn_sized_stack, 0
	.set _Z30warp_striped_to_blocked_kernelIyyLj192ELj3EEvPT_PT0_.has_recursion, 0
	.set _Z30warp_striped_to_blocked_kernelIyyLj192ELj3EEvPT_PT0_.has_indirect_call, 0
	.section	.AMDGPU.csdata,"",@progbits
; Kernel info:
; codeLenInByte = 224
; TotalNumSgprs: 7
; NumVgprs: 11
; ScratchSize: 0
; MemoryBound: 0
; FloatMode: 240
; IeeeMode: 1
; LDSByteSize: 1536 bytes/workgroup (compile time only)
; SGPRBlocks: 0
; VGPRBlocks: 0
; NumSGPRsForWavesPerEU: 7
; NumVGPRsForWavesPerEU: 11
; NamedBarCnt: 0
; Occupancy: 16
; WaveLimiterHint : 0
; COMPUTE_PGM_RSRC2:SCRATCH_EN: 0
; COMPUTE_PGM_RSRC2:USER_SGPR: 2
; COMPUTE_PGM_RSRC2:TRAP_HANDLER: 0
; COMPUTE_PGM_RSRC2:TGID_X_EN: 1
; COMPUTE_PGM_RSRC2:TGID_Y_EN: 0
; COMPUTE_PGM_RSRC2:TGID_Z_EN: 0
; COMPUTE_PGM_RSRC2:TIDIG_COMP_CNT: 0
	.section	.text._Z30warp_striped_to_blocked_kernelIiiLj384ELj3EEvPT_PT0_,"axG",@progbits,_Z30warp_striped_to_blocked_kernelIiiLj384ELj3EEvPT_PT0_,comdat
	.protected	_Z30warp_striped_to_blocked_kernelIiiLj384ELj3EEvPT_PT0_ ; -- Begin function _Z30warp_striped_to_blocked_kernelIiiLj384ELj3EEvPT_PT0_
	.globl	_Z30warp_striped_to_blocked_kernelIiiLj384ELj3EEvPT_PT0_
	.p2align	8
	.type	_Z30warp_striped_to_blocked_kernelIiiLj384ELj3EEvPT_PT0_,@function
_Z30warp_striped_to_blocked_kernelIiiLj384ELj3EEvPT_PT0_: ; @_Z30warp_striped_to_blocked_kernelIiiLj384ELj3EEvPT_PT0_
; %bb.0:
	s_load_b128 s[0:3], s[0:1], 0x0
	s_bfe_u32 s4, ttmp6, 0x4000c
	s_and_b32 s5, ttmp6, 15
	s_add_co_i32 s4, s4, 1
	s_getreg_b32 s6, hwreg(HW_REG_IB_STS2, 6, 4)
	s_mul_i32 s4, ttmp9, s4
	v_mul_u32_u24_e32 v1, 3, v0
	s_add_co_i32 s5, s5, s4
	s_cmp_eq_u32 s6, 0
	v_lshrrev_b32_e32 v0, 6, v0
	s_cselect_b32 s4, ttmp9, s5
	s_mov_b32 s5, 0
	s_mulk_i32 s4, 0x180
	v_lshlrev_b32_e32 v5, 2, v1
	s_lshl_b64 s[4:5], s[4:5], 2
	v_mbcnt_lo_u32_b32 v1, -1, 0
	v_mul_u32_u24_e32 v0, 0xc0, v0
	s_wait_kmcnt 0x0
	s_add_nc_u64 s[0:1], s[0:1], s[4:5]
	s_delay_alu instid0(VALU_DEP_1)
	v_or_b32_e32 v0, v1, v0
	global_load_b96 v[2:4], v5, s[0:1]
	s_wait_xcnt 0x0
	s_add_nc_u64 s[0:1], s[2:3], s[4:5]
	v_lshlrev_b32_e32 v0, 2, v0
	s_wait_loadcnt 0x0
	ds_store_2addr_stride64_b32 v0, v2, v3 offset1:1
	ds_store_b32 v0, v4 offset:512
	v_lshl_add_u32 v1, v1, 3, v0
	; wave barrier
	ds_load_b32 v2, v1 offset:8
	ds_load_2addr_b32 v[0:1], v1 offset1:1
	s_wait_dscnt 0x0
	global_store_b96 v5, v[0:2], s[0:1]
	s_endpgm
	.section	.rodata,"a",@progbits
	.p2align	6, 0x0
	.amdhsa_kernel _Z30warp_striped_to_blocked_kernelIiiLj384ELj3EEvPT_PT0_
		.amdhsa_group_segment_fixed_size 1536
		.amdhsa_private_segment_fixed_size 0
		.amdhsa_kernarg_size 16
		.amdhsa_user_sgpr_count 2
		.amdhsa_user_sgpr_dispatch_ptr 0
		.amdhsa_user_sgpr_queue_ptr 0
		.amdhsa_user_sgpr_kernarg_segment_ptr 1
		.amdhsa_user_sgpr_dispatch_id 0
		.amdhsa_user_sgpr_kernarg_preload_length 0
		.amdhsa_user_sgpr_kernarg_preload_offset 0
		.amdhsa_user_sgpr_private_segment_size 0
		.amdhsa_wavefront_size32 1
		.amdhsa_uses_dynamic_stack 0
		.amdhsa_enable_private_segment 0
		.amdhsa_system_sgpr_workgroup_id_x 1
		.amdhsa_system_sgpr_workgroup_id_y 0
		.amdhsa_system_sgpr_workgroup_id_z 0
		.amdhsa_system_sgpr_workgroup_info 0
		.amdhsa_system_vgpr_workitem_id 0
		.amdhsa_next_free_vgpr 6
		.amdhsa_next_free_sgpr 7
		.amdhsa_named_barrier_count 0
		.amdhsa_reserve_vcc 0
		.amdhsa_float_round_mode_32 0
		.amdhsa_float_round_mode_16_64 0
		.amdhsa_float_denorm_mode_32 3
		.amdhsa_float_denorm_mode_16_64 3
		.amdhsa_fp16_overflow 0
		.amdhsa_memory_ordered 1
		.amdhsa_forward_progress 1
		.amdhsa_inst_pref_size 2
		.amdhsa_round_robin_scheduling 0
		.amdhsa_exception_fp_ieee_invalid_op 0
		.amdhsa_exception_fp_denorm_src 0
		.amdhsa_exception_fp_ieee_div_zero 0
		.amdhsa_exception_fp_ieee_overflow 0
		.amdhsa_exception_fp_ieee_underflow 0
		.amdhsa_exception_fp_ieee_inexact 0
		.amdhsa_exception_int_div_zero 0
	.end_amdhsa_kernel
	.section	.text._Z30warp_striped_to_blocked_kernelIiiLj384ELj3EEvPT_PT0_,"axG",@progbits,_Z30warp_striped_to_blocked_kernelIiiLj384ELj3EEvPT_PT0_,comdat
.Lfunc_end63:
	.size	_Z30warp_striped_to_blocked_kernelIiiLj384ELj3EEvPT_PT0_, .Lfunc_end63-_Z30warp_striped_to_blocked_kernelIiiLj384ELj3EEvPT_PT0_
                                        ; -- End function
	.set _Z30warp_striped_to_blocked_kernelIiiLj384ELj3EEvPT_PT0_.num_vgpr, 6
	.set _Z30warp_striped_to_blocked_kernelIiiLj384ELj3EEvPT_PT0_.num_agpr, 0
	.set _Z30warp_striped_to_blocked_kernelIiiLj384ELj3EEvPT_PT0_.numbered_sgpr, 7
	.set _Z30warp_striped_to_blocked_kernelIiiLj384ELj3EEvPT_PT0_.num_named_barrier, 0
	.set _Z30warp_striped_to_blocked_kernelIiiLj384ELj3EEvPT_PT0_.private_seg_size, 0
	.set _Z30warp_striped_to_blocked_kernelIiiLj384ELj3EEvPT_PT0_.uses_vcc, 0
	.set _Z30warp_striped_to_blocked_kernelIiiLj384ELj3EEvPT_PT0_.uses_flat_scratch, 0
	.set _Z30warp_striped_to_blocked_kernelIiiLj384ELj3EEvPT_PT0_.has_dyn_sized_stack, 0
	.set _Z30warp_striped_to_blocked_kernelIiiLj384ELj3EEvPT_PT0_.has_recursion, 0
	.set _Z30warp_striped_to_blocked_kernelIiiLj384ELj3EEvPT_PT0_.has_indirect_call, 0
	.section	.AMDGPU.csdata,"",@progbits
; Kernel info:
; codeLenInByte = 188
; TotalNumSgprs: 7
; NumVgprs: 6
; ScratchSize: 0
; MemoryBound: 0
; FloatMode: 240
; IeeeMode: 1
; LDSByteSize: 1536 bytes/workgroup (compile time only)
; SGPRBlocks: 0
; VGPRBlocks: 0
; NumSGPRsForWavesPerEU: 7
; NumVGPRsForWavesPerEU: 6
; NamedBarCnt: 0
; Occupancy: 16
; WaveLimiterHint : 0
; COMPUTE_PGM_RSRC2:SCRATCH_EN: 0
; COMPUTE_PGM_RSRC2:USER_SGPR: 2
; COMPUTE_PGM_RSRC2:TRAP_HANDLER: 0
; COMPUTE_PGM_RSRC2:TGID_X_EN: 1
; COMPUTE_PGM_RSRC2:TGID_Y_EN: 0
; COMPUTE_PGM_RSRC2:TGID_Z_EN: 0
; COMPUTE_PGM_RSRC2:TIDIG_COMP_CNT: 0
	.section	.text._Z30warp_striped_to_blocked_kernelIs5dummyIfELj896ELj7EEvPT_PT0_,"axG",@progbits,_Z30warp_striped_to_blocked_kernelIs5dummyIfELj896ELj7EEvPT_PT0_,comdat
	.protected	_Z30warp_striped_to_blocked_kernelIs5dummyIfELj896ELj7EEvPT_PT0_ ; -- Begin function _Z30warp_striped_to_blocked_kernelIs5dummyIfELj896ELj7EEvPT_PT0_
	.globl	_Z30warp_striped_to_blocked_kernelIs5dummyIfELj896ELj7EEvPT_PT0_
	.p2align	8
	.type	_Z30warp_striped_to_blocked_kernelIs5dummyIfELj896ELj7EEvPT_PT0_,@function
_Z30warp_striped_to_blocked_kernelIs5dummyIfELj896ELj7EEvPT_PT0_: ; @_Z30warp_striped_to_blocked_kernelIs5dummyIfELj896ELj7EEvPT_PT0_
; %bb.0:
	s_load_b128 s[0:3], s[0:1], 0x0
	s_bfe_u32 s4, ttmp6, 0x4000c
	s_and_b32 s5, ttmp6, 15
	s_add_co_i32 s4, s4, 1
	s_getreg_b32 s6, hwreg(HW_REG_IB_STS2, 6, 4)
	s_mul_i32 s4, ttmp9, s4
	v_mul_u32_u24_e32 v14, 7, v0
	s_add_co_i32 s5, s5, s4
	s_cmp_eq_u32 s6, 0
	v_lshrrev_b32_e32 v0, 6, v0
	s_cselect_b32 s4, ttmp9, s5
	s_mov_b32 s5, 0
	s_mulk_i32 s4, 0x380
	v_lshlrev_b32_e32 v1, 1, v14
	s_lshl_b64 s[6:7], s[4:5], 1
	v_mul_u32_u24_e32 v0, 0x1c0, v0
	v_lshlrev_b32_e32 v15, 3, v14
	s_wait_kmcnt 0x0
	s_add_nc_u64 s[0:1], s[0:1], s[6:7]
	s_clause 0x1
	global_load_b96 v[2:4], v1, s[0:1]
	global_load_u16 v5, v14, s[0:1] offset:12 scale_offset
	s_wait_xcnt 0x1
	v_mbcnt_lo_u32_b32 v1, -1, 0
	s_wait_xcnt 0x0
	s_lshl_b64 s[0:1], s[4:5], 3
	s_delay_alu instid0(SALU_CYCLE_1) | instskip(NEXT) | instid1(VALU_DEP_1)
	s_add_nc_u64 s[0:1], s[2:3], s[0:1]
	v_or_b32_e32 v0, v1, v0
	s_delay_alu instid0(VALU_DEP_1)
	v_lshlrev_b32_e32 v0, 1, v0
	s_wait_loadcnt 0x1
	ds_store_b16 v0, v2
	ds_store_b16_d16_hi v0, v2 offset:128
	ds_store_b16 v0, v3 offset:256
	ds_store_b16_d16_hi v0, v3 offset:384
	ds_store_b16 v0, v4 offset:512
	ds_store_b16_d16_hi v0, v4 offset:640
	s_wait_loadcnt 0x0
	ds_store_b16 v0, v5 offset:768
	v_mad_u32_u24 v6, v1, 12, v0
	; wave barrier
	ds_load_b96 v[0:2], v6
	ds_load_i16 v3, v6 offset:12
	s_wait_dscnt 0x1
	v_bfe_i32 v4, v0, 0, 16
	v_bfe_i32 v5, v1, 0, 16
	v_dual_ashrrev_i32 v1, 16, v1 :: v_dual_ashrrev_i32 v0, 16, v0
	v_bfe_i32 v6, v2, 0, 16
	s_wait_dscnt 0x0
	v_dual_ashrrev_i32 v2, 16, v2 :: v_dual_add_nc_u32 v7, 1, v3
	v_dual_lshlrev_b32 v3, 1, v3 :: v_dual_add_nc_u32 v8, 1, v4
	v_dual_lshlrev_b32 v4, 1, v4 :: v_dual_add_nc_u32 v10, 1, v5
	v_lshlrev_b32_e32 v5, 1, v5
	v_dual_add_nc_u32 v11, 1, v1 :: v_dual_lshlrev_b32 v17, 1, v1
	v_dual_add_nc_u32 v16, 1, v0 :: v_dual_lshlrev_b32 v9, 1, v0
	;; [unrolled: 1-line block ×4, first 2 shown]
	v_cvt_f32_i32_e32 v12, v7
	v_cvt_f32_i32_e32 v1, v4
	;; [unrolled: 1-line block ×14, first 2 shown]
	s_clause 0x3
	global_store_b128 v15, v[4:7], s[0:1] offset:16
	global_store_b128 v15, v[8:11], s[0:1] offset:32
	global_store_b128 v15, v[0:3], s[0:1]
	global_store_b64 v14, v[12:13], s[0:1] offset:48 scale_offset
	s_endpgm
	.section	.rodata,"a",@progbits
	.p2align	6, 0x0
	.amdhsa_kernel _Z30warp_striped_to_blocked_kernelIs5dummyIfELj896ELj7EEvPT_PT0_
		.amdhsa_group_segment_fixed_size 1792
		.amdhsa_private_segment_fixed_size 0
		.amdhsa_kernarg_size 16
		.amdhsa_user_sgpr_count 2
		.amdhsa_user_sgpr_dispatch_ptr 0
		.amdhsa_user_sgpr_queue_ptr 0
		.amdhsa_user_sgpr_kernarg_segment_ptr 1
		.amdhsa_user_sgpr_dispatch_id 0
		.amdhsa_user_sgpr_kernarg_preload_length 0
		.amdhsa_user_sgpr_kernarg_preload_offset 0
		.amdhsa_user_sgpr_private_segment_size 0
		.amdhsa_wavefront_size32 1
		.amdhsa_uses_dynamic_stack 0
		.amdhsa_enable_private_segment 0
		.amdhsa_system_sgpr_workgroup_id_x 1
		.amdhsa_system_sgpr_workgroup_id_y 0
		.amdhsa_system_sgpr_workgroup_id_z 0
		.amdhsa_system_sgpr_workgroup_info 0
		.amdhsa_system_vgpr_workitem_id 0
		.amdhsa_next_free_vgpr 21
		.amdhsa_next_free_sgpr 8
		.amdhsa_named_barrier_count 0
		.amdhsa_reserve_vcc 0
		.amdhsa_float_round_mode_32 0
		.amdhsa_float_round_mode_16_64 0
		.amdhsa_float_denorm_mode_32 3
		.amdhsa_float_denorm_mode_16_64 3
		.amdhsa_fp16_overflow 0
		.amdhsa_memory_ordered 1
		.amdhsa_forward_progress 1
		.amdhsa_inst_pref_size 4
		.amdhsa_round_robin_scheduling 0
		.amdhsa_exception_fp_ieee_invalid_op 0
		.amdhsa_exception_fp_denorm_src 0
		.amdhsa_exception_fp_ieee_div_zero 0
		.amdhsa_exception_fp_ieee_overflow 0
		.amdhsa_exception_fp_ieee_underflow 0
		.amdhsa_exception_fp_ieee_inexact 0
		.amdhsa_exception_int_div_zero 0
	.end_amdhsa_kernel
	.section	.text._Z30warp_striped_to_blocked_kernelIs5dummyIfELj896ELj7EEvPT_PT0_,"axG",@progbits,_Z30warp_striped_to_blocked_kernelIs5dummyIfELj896ELj7EEvPT_PT0_,comdat
.Lfunc_end64:
	.size	_Z30warp_striped_to_blocked_kernelIs5dummyIfELj896ELj7EEvPT_PT0_, .Lfunc_end64-_Z30warp_striped_to_blocked_kernelIs5dummyIfELj896ELj7EEvPT_PT0_
                                        ; -- End function
	.set _Z30warp_striped_to_blocked_kernelIs5dummyIfELj896ELj7EEvPT_PT0_.num_vgpr, 21
	.set _Z30warp_striped_to_blocked_kernelIs5dummyIfELj896ELj7EEvPT_PT0_.num_agpr, 0
	.set _Z30warp_striped_to_blocked_kernelIs5dummyIfELj896ELj7EEvPT_PT0_.numbered_sgpr, 8
	.set _Z30warp_striped_to_blocked_kernelIs5dummyIfELj896ELj7EEvPT_PT0_.num_named_barrier, 0
	.set _Z30warp_striped_to_blocked_kernelIs5dummyIfELj896ELj7EEvPT_PT0_.private_seg_size, 0
	.set _Z30warp_striped_to_blocked_kernelIs5dummyIfELj896ELj7EEvPT_PT0_.uses_vcc, 0
	.set _Z30warp_striped_to_blocked_kernelIs5dummyIfELj896ELj7EEvPT_PT0_.uses_flat_scratch, 0
	.set _Z30warp_striped_to_blocked_kernelIs5dummyIfELj896ELj7EEvPT_PT0_.has_dyn_sized_stack, 0
	.set _Z30warp_striped_to_blocked_kernelIs5dummyIfELj896ELj7EEvPT_PT0_.has_recursion, 0
	.set _Z30warp_striped_to_blocked_kernelIs5dummyIfELj896ELj7EEvPT_PT0_.has_indirect_call, 0
	.section	.AMDGPU.csdata,"",@progbits
; Kernel info:
; codeLenInByte = 488
; TotalNumSgprs: 8
; NumVgprs: 21
; ScratchSize: 0
; MemoryBound: 0
; FloatMode: 240
; IeeeMode: 1
; LDSByteSize: 1792 bytes/workgroup (compile time only)
; SGPRBlocks: 0
; VGPRBlocks: 1
; NumSGPRsForWavesPerEU: 8
; NumVGPRsForWavesPerEU: 21
; NamedBarCnt: 0
; Occupancy: 16
; WaveLimiterHint : 0
; COMPUTE_PGM_RSRC2:SCRATCH_EN: 0
; COMPUTE_PGM_RSRC2:USER_SGPR: 2
; COMPUTE_PGM_RSRC2:TRAP_HANDLER: 0
; COMPUTE_PGM_RSRC2:TGID_X_EN: 1
; COMPUTE_PGM_RSRC2:TGID_Y_EN: 0
; COMPUTE_PGM_RSRC2:TGID_Z_EN: 0
; COMPUTE_PGM_RSRC2:TIDIG_COMP_CNT: 0
	.section	.text._Z30warp_striped_to_blocked_kernelIiiLj2560ELj5EEvPT_PT0_,"axG",@progbits,_Z30warp_striped_to_blocked_kernelIiiLj2560ELj5EEvPT_PT0_,comdat
	.protected	_Z30warp_striped_to_blocked_kernelIiiLj2560ELj5EEvPT_PT0_ ; -- Begin function _Z30warp_striped_to_blocked_kernelIiiLj2560ELj5EEvPT_PT0_
	.globl	_Z30warp_striped_to_blocked_kernelIiiLj2560ELj5EEvPT_PT0_
	.p2align	8
	.type	_Z30warp_striped_to_blocked_kernelIiiLj2560ELj5EEvPT_PT0_,@function
_Z30warp_striped_to_blocked_kernelIiiLj2560ELj5EEvPT_PT0_: ; @_Z30warp_striped_to_blocked_kernelIiiLj2560ELj5EEvPT_PT0_
; %bb.0:
	s_load_b128 s[0:3], s[0:1], 0x0
	s_bfe_u32 s4, ttmp6, 0x4000c
	s_and_b32 s5, ttmp6, 15
	s_add_co_i32 s4, s4, 1
	s_getreg_b32 s6, hwreg(HW_REG_IB_STS2, 6, 4)
	s_mul_i32 s4, ttmp9, s4
	v_mul_u32_u24_e32 v6, 5, v0
	s_add_co_i32 s5, s5, s4
	s_cmp_eq_u32 s6, 0
	v_lshrrev_b32_e32 v0, 6, v0
	s_cselect_b32 s4, ttmp9, s5
	s_mov_b32 s5, 0
	s_mulk_i32 s4, 0xa00
	v_lshlrev_b32_e32 v7, 2, v6
	s_lshl_b64 s[4:5], s[4:5], 2
	v_mbcnt_lo_u32_b32 v8, -1, 0
	v_mul_u32_u24_e32 v0, 0x140, v0
	s_wait_kmcnt 0x0
	s_add_nc_u64 s[0:1], s[0:1], s[4:5]
	s_delay_alu instid0(VALU_DEP_1)
	v_or_b32_e32 v0, v8, v0
	s_clause 0x1
	global_load_b128 v[2:5], v7, s[0:1]
	global_load_b32 v1, v6, s[0:1] offset:16 scale_offset
	s_wait_xcnt 0x0
	s_add_nc_u64 s[0:1], s[2:3], s[4:5]
	v_lshlrev_b32_e32 v0, 2, v0
	s_wait_loadcnt 0x1
	ds_store_2addr_stride64_b32 v0, v2, v3 offset1:1
	ds_store_2addr_stride64_b32 v0, v4, v5 offset0:2 offset1:3
	s_wait_loadcnt 0x0
	ds_store_b32 v0, v1 offset:1024
	v_lshl_add_u32 v8, v8, 4, v0
	; wave barrier
	ds_load_2addr_b32 v[0:1], v8 offset1:1
	ds_load_2addr_b32 v[2:3], v8 offset0:2 offset1:3
	ds_load_b32 v4, v8 offset:16
	s_wait_dscnt 0x1
	global_store_b128 v7, v[0:3], s[0:1]
	s_wait_dscnt 0x0
	global_store_b32 v6, v4, s[0:1] offset:16 scale_offset
	s_endpgm
	.section	.rodata,"a",@progbits
	.p2align	6, 0x0
	.amdhsa_kernel _Z30warp_striped_to_blocked_kernelIiiLj2560ELj5EEvPT_PT0_
		.amdhsa_group_segment_fixed_size 10240
		.amdhsa_private_segment_fixed_size 0
		.amdhsa_kernarg_size 16
		.amdhsa_user_sgpr_count 2
		.amdhsa_user_sgpr_dispatch_ptr 0
		.amdhsa_user_sgpr_queue_ptr 0
		.amdhsa_user_sgpr_kernarg_segment_ptr 1
		.amdhsa_user_sgpr_dispatch_id 0
		.amdhsa_user_sgpr_kernarg_preload_length 0
		.amdhsa_user_sgpr_kernarg_preload_offset 0
		.amdhsa_user_sgpr_private_segment_size 0
		.amdhsa_wavefront_size32 1
		.amdhsa_uses_dynamic_stack 0
		.amdhsa_enable_private_segment 0
		.amdhsa_system_sgpr_workgroup_id_x 1
		.amdhsa_system_sgpr_workgroup_id_y 0
		.amdhsa_system_sgpr_workgroup_id_z 0
		.amdhsa_system_sgpr_workgroup_info 0
		.amdhsa_system_vgpr_workitem_id 0
		.amdhsa_next_free_vgpr 9
		.amdhsa_next_free_sgpr 7
		.amdhsa_named_barrier_count 0
		.amdhsa_reserve_vcc 0
		.amdhsa_float_round_mode_32 0
		.amdhsa_float_round_mode_16_64 0
		.amdhsa_float_denorm_mode_32 3
		.amdhsa_float_denorm_mode_16_64 3
		.amdhsa_fp16_overflow 0
		.amdhsa_memory_ordered 1
		.amdhsa_forward_progress 1
		.amdhsa_inst_pref_size 2
		.amdhsa_round_robin_scheduling 0
		.amdhsa_exception_fp_ieee_invalid_op 0
		.amdhsa_exception_fp_denorm_src 0
		.amdhsa_exception_fp_ieee_div_zero 0
		.amdhsa_exception_fp_ieee_overflow 0
		.amdhsa_exception_fp_ieee_underflow 0
		.amdhsa_exception_fp_ieee_inexact 0
		.amdhsa_exception_int_div_zero 0
	.end_amdhsa_kernel
	.section	.text._Z30warp_striped_to_blocked_kernelIiiLj2560ELj5EEvPT_PT0_,"axG",@progbits,_Z30warp_striped_to_blocked_kernelIiiLj2560ELj5EEvPT_PT0_,comdat
.Lfunc_end65:
	.size	_Z30warp_striped_to_blocked_kernelIiiLj2560ELj5EEvPT_PT0_, .Lfunc_end65-_Z30warp_striped_to_blocked_kernelIiiLj2560ELj5EEvPT_PT0_
                                        ; -- End function
	.set _Z30warp_striped_to_blocked_kernelIiiLj2560ELj5EEvPT_PT0_.num_vgpr, 9
	.set _Z30warp_striped_to_blocked_kernelIiiLj2560ELj5EEvPT_PT0_.num_agpr, 0
	.set _Z30warp_striped_to_blocked_kernelIiiLj2560ELj5EEvPT_PT0_.numbered_sgpr, 7
	.set _Z30warp_striped_to_blocked_kernelIiiLj2560ELj5EEvPT_PT0_.num_named_barrier, 0
	.set _Z30warp_striped_to_blocked_kernelIiiLj2560ELj5EEvPT_PT0_.private_seg_size, 0
	.set _Z30warp_striped_to_blocked_kernelIiiLj2560ELj5EEvPT_PT0_.uses_vcc, 0
	.set _Z30warp_striped_to_blocked_kernelIiiLj2560ELj5EEvPT_PT0_.uses_flat_scratch, 0
	.set _Z30warp_striped_to_blocked_kernelIiiLj2560ELj5EEvPT_PT0_.has_dyn_sized_stack, 0
	.set _Z30warp_striped_to_blocked_kernelIiiLj2560ELj5EEvPT_PT0_.has_recursion, 0
	.set _Z30warp_striped_to_blocked_kernelIiiLj2560ELj5EEvPT_PT0_.has_indirect_call, 0
	.section	.AMDGPU.csdata,"",@progbits
; Kernel info:
; codeLenInByte = 240
; TotalNumSgprs: 7
; NumVgprs: 9
; ScratchSize: 0
; MemoryBound: 0
; FloatMode: 240
; IeeeMode: 1
; LDSByteSize: 10240 bytes/workgroup (compile time only)
; SGPRBlocks: 0
; VGPRBlocks: 0
; NumSGPRsForWavesPerEU: 7
; NumVGPRsForWavesPerEU: 9
; NamedBarCnt: 0
; Occupancy: 16
; WaveLimiterHint : 0
; COMPUTE_PGM_RSRC2:SCRATCH_EN: 0
; COMPUTE_PGM_RSRC2:USER_SGPR: 2
; COMPUTE_PGM_RSRC2:TRAP_HANDLER: 0
; COMPUTE_PGM_RSRC2:TGID_X_EN: 1
; COMPUTE_PGM_RSRC2:TGID_Y_EN: 0
; COMPUTE_PGM_RSRC2:TGID_Z_EN: 0
; COMPUTE_PGM_RSRC2:TIDIG_COMP_CNT: 0
	.section	.text._Z30warp_striped_to_blocked_kernelIxxLj1024ELj4EEvPT_PT0_,"axG",@progbits,_Z30warp_striped_to_blocked_kernelIxxLj1024ELj4EEvPT_PT0_,comdat
	.protected	_Z30warp_striped_to_blocked_kernelIxxLj1024ELj4EEvPT_PT0_ ; -- Begin function _Z30warp_striped_to_blocked_kernelIxxLj1024ELj4EEvPT_PT0_
	.globl	_Z30warp_striped_to_blocked_kernelIxxLj1024ELj4EEvPT_PT0_
	.p2align	8
	.type	_Z30warp_striped_to_blocked_kernelIxxLj1024ELj4EEvPT_PT0_,@function
_Z30warp_striped_to_blocked_kernelIxxLj1024ELj4EEvPT_PT0_: ; @_Z30warp_striped_to_blocked_kernelIxxLj1024ELj4EEvPT_PT0_
; %bb.0:
	s_load_b128 s[0:3], s[0:1], 0x0
	s_bfe_u32 s4, ttmp6, 0x4000c
	s_and_b32 s5, ttmp6, 15
	s_add_co_i32 s4, s4, 1
	s_getreg_b32 s6, hwreg(HW_REG_IB_STS2, 6, 4)
	s_mul_i32 s4, ttmp9, s4
	v_dual_lshlrev_b32 v10, 5, v0 :: v_dual_lshlrev_b32 v11, 2, v0
	s_add_co_i32 s5, s5, s4
	s_cmp_eq_u32 s6, 0
	v_mbcnt_lo_u32_b32 v1, -1, 0
	s_cselect_b32 s4, ttmp9, s5
	s_mov_b32 s5, 0
	s_lshl_b32 s4, s4, 10
	v_and_b32_e32 v11, 0x700, v11
	s_lshl_b64 s[4:5], s[4:5], 3
	v_and_or_b32 v0, 0x1c0, v0, v1
	s_delay_alu instid0(VALU_DEP_2) | instskip(SKIP_2) | instid1(VALU_DEP_2)
	v_or_b32_e32 v1, v1, v11
	s_wait_kmcnt 0x0
	s_add_nc_u64 s[0:1], s[0:1], s[4:5]
	v_lshlrev_b32_e32 v12, 2, v0
	s_clause 0x1
	global_load_b128 v[2:5], v10, s[0:1]
	global_load_b128 v[6:9], v10, s[0:1] offset:16
	v_or_b32_e32 v13, 64, v11
	v_or_b32_e32 v14, 0x80, v11
	;; [unrolled: 1-line block ×3, first 2 shown]
	v_dual_lshrrev_b32 v11, 2, v11 :: v_dual_lshlrev_b32 v1, 3, v1
	v_bfe_u32 v0, v0, 3, 27
	s_delay_alu instid0(VALU_DEP_3) | instskip(NEXT) | instid1(VALU_DEP_3)
	v_dual_lshrrev_b32 v13, 2, v13 :: v_dual_lshrrev_b32 v15, 2, v15
	v_dual_lshrrev_b32 v14, 2, v14 :: v_dual_add_nc_u32 v11, v11, v1
	s_delay_alu instid0(VALU_DEP_3) | instskip(NEXT) | instid1(VALU_DEP_3)
	v_add_lshl_u32 v12, v0, v12, 3
	v_add_nc_u32_e32 v13, v13, v1
	s_wait_xcnt 0x0
	s_add_nc_u64 s[0:1], s[2:3], s[4:5]
	v_dual_add_nc_u32 v14, v14, v1 :: v_dual_add_nc_u32 v1, v15, v1
	s_wait_loadcnt 0x1
	ds_store_b64 v11, v[2:3]
	ds_store_b64 v13, v[4:5] offset:512
	s_wait_loadcnt 0x0
	ds_store_b64 v14, v[6:7] offset:1024
	ds_store_b64 v1, v[8:9] offset:1536
	; wave barrier
	ds_load_2addr_b64 v[0:3], v12 offset1:1
	ds_load_2addr_b64 v[4:7], v12 offset0:2 offset1:3
	s_wait_dscnt 0x1
	global_store_b128 v10, v[0:3], s[0:1]
	s_wait_dscnt 0x0
	global_store_b128 v10, v[4:7], s[0:1] offset:16
	s_endpgm
	.section	.rodata,"a",@progbits
	.p2align	6, 0x0
	.amdhsa_kernel _Z30warp_striped_to_blocked_kernelIxxLj1024ELj4EEvPT_PT0_
		.amdhsa_group_segment_fixed_size 8448
		.amdhsa_private_segment_fixed_size 0
		.amdhsa_kernarg_size 16
		.amdhsa_user_sgpr_count 2
		.amdhsa_user_sgpr_dispatch_ptr 0
		.amdhsa_user_sgpr_queue_ptr 0
		.amdhsa_user_sgpr_kernarg_segment_ptr 1
		.amdhsa_user_sgpr_dispatch_id 0
		.amdhsa_user_sgpr_kernarg_preload_length 0
		.amdhsa_user_sgpr_kernarg_preload_offset 0
		.amdhsa_user_sgpr_private_segment_size 0
		.amdhsa_wavefront_size32 1
		.amdhsa_uses_dynamic_stack 0
		.amdhsa_enable_private_segment 0
		.amdhsa_system_sgpr_workgroup_id_x 1
		.amdhsa_system_sgpr_workgroup_id_y 0
		.amdhsa_system_sgpr_workgroup_id_z 0
		.amdhsa_system_sgpr_workgroup_info 0
		.amdhsa_system_vgpr_workitem_id 0
		.amdhsa_next_free_vgpr 16
		.amdhsa_next_free_sgpr 7
		.amdhsa_named_barrier_count 0
		.amdhsa_reserve_vcc 0
		.amdhsa_float_round_mode_32 0
		.amdhsa_float_round_mode_16_64 0
		.amdhsa_float_denorm_mode_32 3
		.amdhsa_float_denorm_mode_16_64 3
		.amdhsa_fp16_overflow 0
		.amdhsa_memory_ordered 1
		.amdhsa_forward_progress 1
		.amdhsa_inst_pref_size 3
		.amdhsa_round_robin_scheduling 0
		.amdhsa_exception_fp_ieee_invalid_op 0
		.amdhsa_exception_fp_denorm_src 0
		.amdhsa_exception_fp_ieee_div_zero 0
		.amdhsa_exception_fp_ieee_overflow 0
		.amdhsa_exception_fp_ieee_underflow 0
		.amdhsa_exception_fp_ieee_inexact 0
		.amdhsa_exception_int_div_zero 0
	.end_amdhsa_kernel
	.section	.text._Z30warp_striped_to_blocked_kernelIxxLj1024ELj4EEvPT_PT0_,"axG",@progbits,_Z30warp_striped_to_blocked_kernelIxxLj1024ELj4EEvPT_PT0_,comdat
.Lfunc_end66:
	.size	_Z30warp_striped_to_blocked_kernelIxxLj1024ELj4EEvPT_PT0_, .Lfunc_end66-_Z30warp_striped_to_blocked_kernelIxxLj1024ELj4EEvPT_PT0_
                                        ; -- End function
	.set _Z30warp_striped_to_blocked_kernelIxxLj1024ELj4EEvPT_PT0_.num_vgpr, 16
	.set _Z30warp_striped_to_blocked_kernelIxxLj1024ELj4EEvPT_PT0_.num_agpr, 0
	.set _Z30warp_striped_to_blocked_kernelIxxLj1024ELj4EEvPT_PT0_.numbered_sgpr, 7
	.set _Z30warp_striped_to_blocked_kernelIxxLj1024ELj4EEvPT_PT0_.num_named_barrier, 0
	.set _Z30warp_striped_to_blocked_kernelIxxLj1024ELj4EEvPT_PT0_.private_seg_size, 0
	.set _Z30warp_striped_to_blocked_kernelIxxLj1024ELj4EEvPT_PT0_.uses_vcc, 0
	.set _Z30warp_striped_to_blocked_kernelIxxLj1024ELj4EEvPT_PT0_.uses_flat_scratch, 0
	.set _Z30warp_striped_to_blocked_kernelIxxLj1024ELj4EEvPT_PT0_.has_dyn_sized_stack, 0
	.set _Z30warp_striped_to_blocked_kernelIxxLj1024ELj4EEvPT_PT0_.has_recursion, 0
	.set _Z30warp_striped_to_blocked_kernelIxxLj1024ELj4EEvPT_PT0_.has_indirect_call, 0
	.section	.AMDGPU.csdata,"",@progbits
; Kernel info:
; codeLenInByte = 340
; TotalNumSgprs: 7
; NumVgprs: 16
; ScratchSize: 0
; MemoryBound: 0
; FloatMode: 240
; IeeeMode: 1
; LDSByteSize: 8448 bytes/workgroup (compile time only)
; SGPRBlocks: 0
; VGPRBlocks: 0
; NumSGPRsForWavesPerEU: 7
; NumVGPRsForWavesPerEU: 16
; NamedBarCnt: 0
; Occupancy: 16
; WaveLimiterHint : 0
; COMPUTE_PGM_RSRC2:SCRATCH_EN: 0
; COMPUTE_PGM_RSRC2:USER_SGPR: 2
; COMPUTE_PGM_RSRC2:TRAP_HANDLER: 0
; COMPUTE_PGM_RSRC2:TGID_X_EN: 1
; COMPUTE_PGM_RSRC2:TGID_Y_EN: 0
; COMPUTE_PGM_RSRC2:TGID_Z_EN: 0
; COMPUTE_PGM_RSRC2:TIDIG_COMP_CNT: 0
	.section	.text._Z30warp_striped_to_blocked_kernelIiiLj128ELj2EEvPT_PT0_,"axG",@progbits,_Z30warp_striped_to_blocked_kernelIiiLj128ELj2EEvPT_PT0_,comdat
	.protected	_Z30warp_striped_to_blocked_kernelIiiLj128ELj2EEvPT_PT0_ ; -- Begin function _Z30warp_striped_to_blocked_kernelIiiLj128ELj2EEvPT_PT0_
	.globl	_Z30warp_striped_to_blocked_kernelIiiLj128ELj2EEvPT_PT0_
	.p2align	8
	.type	_Z30warp_striped_to_blocked_kernelIiiLj128ELj2EEvPT_PT0_,@function
_Z30warp_striped_to_blocked_kernelIiiLj128ELj2EEvPT_PT0_: ; @_Z30warp_striped_to_blocked_kernelIiiLj128ELj2EEvPT_PT0_
; %bb.0:
	s_load_b128 s[0:3], s[0:1], 0x0
	s_bfe_u32 s4, ttmp6, 0x4000c
	s_and_b32 s5, ttmp6, 15
	s_add_co_i32 s4, s4, 1
	s_getreg_b32 s6, hwreg(HW_REG_IB_STS2, 6, 4)
	s_mul_i32 s4, ttmp9, s4
	v_mbcnt_lo_u32_b32 v4, -1, 0
	s_add_co_i32 s5, s5, s4
	s_cmp_eq_u32 s6, 0
	s_cselect_b32 s4, ttmp9, s5
	s_mov_b32 s5, 0
	s_lshl_b32 s4, s4, 7
	v_and_or_b32 v5, 0x1c0, v0, v4
	s_lshl_b64 s[4:5], s[4:5], 2
	s_delay_alu instid0(VALU_DEP_1) | instskip(NEXT) | instid1(VALU_DEP_1)
	v_dual_lshlrev_b32 v1, 1, v0 :: v_dual_lshrrev_b32 v7, 2, v5
	v_and_b32_e32 v1, 0x380, v1
	s_wait_kmcnt 0x0
	s_add_nc_u64 s[0:1], s[0:1], s[4:5]
	global_load_b64 v[2:3], v0, s[0:1] scale_offset
	v_and_b32_e32 v7, 0x74, v7
	v_or_b32_e32 v4, v4, v1
	v_dual_lshrrev_b32 v1, 3, v1 :: v_dual_bitop2_b32 v6, 64, v1 bitop3:0x54
	s_wait_xcnt 0x0
	s_add_nc_u64 s[0:1], s[2:3], s[4:5]
	v_lshl_add_u32 v5, v5, 3, v7
	s_delay_alu instid0(VALU_DEP_2) | instskip(NEXT) | instid1(VALU_DEP_1)
	v_dual_lshlrev_b32 v4, 2, v4 :: v_dual_lshrrev_b32 v6, 3, v6
	v_dual_add_nc_u32 v1, v1, v4 :: v_dual_add_nc_u32 v4, v6, v4
	s_wait_loadcnt 0x0
	ds_store_b32 v1, v2
	ds_store_b32 v4, v3 offset:256
	; wave barrier
	ds_load_2addr_b32 v[2:3], v5 offset1:1
	s_wait_dscnt 0x0
	global_store_b64 v0, v[2:3], s[0:1] scale_offset
	s_endpgm
	.section	.rodata,"a",@progbits
	.p2align	6, 0x0
	.amdhsa_kernel _Z30warp_striped_to_blocked_kernelIiiLj128ELj2EEvPT_PT0_
		.amdhsa_group_segment_fixed_size 528
		.amdhsa_private_segment_fixed_size 0
		.amdhsa_kernarg_size 16
		.amdhsa_user_sgpr_count 2
		.amdhsa_user_sgpr_dispatch_ptr 0
		.amdhsa_user_sgpr_queue_ptr 0
		.amdhsa_user_sgpr_kernarg_segment_ptr 1
		.amdhsa_user_sgpr_dispatch_id 0
		.amdhsa_user_sgpr_kernarg_preload_length 0
		.amdhsa_user_sgpr_kernarg_preload_offset 0
		.amdhsa_user_sgpr_private_segment_size 0
		.amdhsa_wavefront_size32 1
		.amdhsa_uses_dynamic_stack 0
		.amdhsa_enable_private_segment 0
		.amdhsa_system_sgpr_workgroup_id_x 1
		.amdhsa_system_sgpr_workgroup_id_y 0
		.amdhsa_system_sgpr_workgroup_id_z 0
		.amdhsa_system_sgpr_workgroup_info 0
		.amdhsa_system_vgpr_workitem_id 0
		.amdhsa_next_free_vgpr 8
		.amdhsa_next_free_sgpr 7
		.amdhsa_named_barrier_count 0
		.amdhsa_reserve_vcc 0
		.amdhsa_float_round_mode_32 0
		.amdhsa_float_round_mode_16_64 0
		.amdhsa_float_denorm_mode_32 3
		.amdhsa_float_denorm_mode_16_64 3
		.amdhsa_fp16_overflow 0
		.amdhsa_memory_ordered 1
		.amdhsa_forward_progress 1
		.amdhsa_inst_pref_size 2
		.amdhsa_round_robin_scheduling 0
		.amdhsa_exception_fp_ieee_invalid_op 0
		.amdhsa_exception_fp_denorm_src 0
		.amdhsa_exception_fp_ieee_div_zero 0
		.amdhsa_exception_fp_ieee_overflow 0
		.amdhsa_exception_fp_ieee_underflow 0
		.amdhsa_exception_fp_ieee_inexact 0
		.amdhsa_exception_int_div_zero 0
	.end_amdhsa_kernel
	.section	.text._Z30warp_striped_to_blocked_kernelIiiLj128ELj2EEvPT_PT0_,"axG",@progbits,_Z30warp_striped_to_blocked_kernelIiiLj128ELj2EEvPT_PT0_,comdat
.Lfunc_end67:
	.size	_Z30warp_striped_to_blocked_kernelIiiLj128ELj2EEvPT_PT0_, .Lfunc_end67-_Z30warp_striped_to_blocked_kernelIiiLj128ELj2EEvPT_PT0_
                                        ; -- End function
	.set _Z30warp_striped_to_blocked_kernelIiiLj128ELj2EEvPT_PT0_.num_vgpr, 8
	.set _Z30warp_striped_to_blocked_kernelIiiLj128ELj2EEvPT_PT0_.num_agpr, 0
	.set _Z30warp_striped_to_blocked_kernelIiiLj128ELj2EEvPT_PT0_.numbered_sgpr, 7
	.set _Z30warp_striped_to_blocked_kernelIiiLj128ELj2EEvPT_PT0_.num_named_barrier, 0
	.set _Z30warp_striped_to_blocked_kernelIiiLj128ELj2EEvPT_PT0_.private_seg_size, 0
	.set _Z30warp_striped_to_blocked_kernelIiiLj128ELj2EEvPT_PT0_.uses_vcc, 0
	.set _Z30warp_striped_to_blocked_kernelIiiLj128ELj2EEvPT_PT0_.uses_flat_scratch, 0
	.set _Z30warp_striped_to_blocked_kernelIiiLj128ELj2EEvPT_PT0_.has_dyn_sized_stack, 0
	.set _Z30warp_striped_to_blocked_kernelIiiLj128ELj2EEvPT_PT0_.has_recursion, 0
	.set _Z30warp_striped_to_blocked_kernelIiiLj128ELj2EEvPT_PT0_.has_indirect_call, 0
	.section	.AMDGPU.csdata,"",@progbits
; Kernel info:
; codeLenInByte = 236
; TotalNumSgprs: 7
; NumVgprs: 8
; ScratchSize: 0
; MemoryBound: 0
; FloatMode: 240
; IeeeMode: 1
; LDSByteSize: 528 bytes/workgroup (compile time only)
; SGPRBlocks: 0
; VGPRBlocks: 0
; NumSGPRsForWavesPerEU: 7
; NumVGPRsForWavesPerEU: 8
; NamedBarCnt: 0
; Occupancy: 16
; WaveLimiterHint : 0
; COMPUTE_PGM_RSRC2:SCRATCH_EN: 0
; COMPUTE_PGM_RSRC2:USER_SGPR: 2
; COMPUTE_PGM_RSRC2:TRAP_HANDLER: 0
; COMPUTE_PGM_RSRC2:TGID_X_EN: 1
; COMPUTE_PGM_RSRC2:TGID_Y_EN: 0
; COMPUTE_PGM_RSRC2:TGID_Z_EN: 0
; COMPUTE_PGM_RSRC2:TIDIG_COMP_CNT: 0
	.section	.text._Z30warp_striped_to_blocked_kernelIxxLj512ELj1EEvPT_PT0_,"axG",@progbits,_Z30warp_striped_to_blocked_kernelIxxLj512ELj1EEvPT_PT0_,comdat
	.protected	_Z30warp_striped_to_blocked_kernelIxxLj512ELj1EEvPT_PT0_ ; -- Begin function _Z30warp_striped_to_blocked_kernelIxxLj512ELj1EEvPT_PT0_
	.globl	_Z30warp_striped_to_blocked_kernelIxxLj512ELj1EEvPT_PT0_
	.p2align	8
	.type	_Z30warp_striped_to_blocked_kernelIxxLj512ELj1EEvPT_PT0_,@function
_Z30warp_striped_to_blocked_kernelIxxLj512ELj1EEvPT_PT0_: ; @_Z30warp_striped_to_blocked_kernelIxxLj512ELj1EEvPT_PT0_
; %bb.0:
	s_load_b128 s[0:3], s[0:1], 0x0
	s_bfe_u32 s4, ttmp6, 0x4000c
	s_and_b32 s5, ttmp6, 15
	s_add_co_i32 s4, s4, 1
	s_getreg_b32 s6, hwreg(HW_REG_IB_STS2, 6, 4)
	s_mul_i32 s4, ttmp9, s4
	v_mbcnt_lo_u32_b32 v1, -1, 0
	s_add_co_i32 s5, s5, s4
	s_cmp_eq_u32 s6, 0
	s_cselect_b32 s4, ttmp9, s5
	s_mov_b32 s5, 0
	s_lshl_b32 s4, s4, 9
	v_and_or_b32 v1, 0x1c0, v0, v1
	s_lshl_b64 s[4:5], s[4:5], 3
	s_delay_alu instid0(VALU_DEP_1)
	v_lshlrev_b32_e32 v1, 3, v1
	s_wait_kmcnt 0x0
	s_add_nc_u64 s[0:1], s[0:1], s[4:5]
	global_load_b64 v[2:3], v0, s[0:1] scale_offset
	s_wait_xcnt 0x0
	s_add_nc_u64 s[0:1], s[2:3], s[4:5]
	s_wait_loadcnt 0x0
	ds_store_b64 v1, v[2:3]
	; wave barrier
	ds_load_b64 v[2:3], v1
	s_wait_dscnt 0x0
	global_store_b64 v0, v[2:3], s[0:1] scale_offset
	s_endpgm
	.section	.rodata,"a",@progbits
	.p2align	6, 0x0
	.amdhsa_kernel _Z30warp_striped_to_blocked_kernelIxxLj512ELj1EEvPT_PT0_
		.amdhsa_group_segment_fixed_size 4096
		.amdhsa_private_segment_fixed_size 0
		.amdhsa_kernarg_size 16
		.amdhsa_user_sgpr_count 2
		.amdhsa_user_sgpr_dispatch_ptr 0
		.amdhsa_user_sgpr_queue_ptr 0
		.amdhsa_user_sgpr_kernarg_segment_ptr 1
		.amdhsa_user_sgpr_dispatch_id 0
		.amdhsa_user_sgpr_kernarg_preload_length 0
		.amdhsa_user_sgpr_kernarg_preload_offset 0
		.amdhsa_user_sgpr_private_segment_size 0
		.amdhsa_wavefront_size32 1
		.amdhsa_uses_dynamic_stack 0
		.amdhsa_enable_private_segment 0
		.amdhsa_system_sgpr_workgroup_id_x 1
		.amdhsa_system_sgpr_workgroup_id_y 0
		.amdhsa_system_sgpr_workgroup_id_z 0
		.amdhsa_system_sgpr_workgroup_info 0
		.amdhsa_system_vgpr_workitem_id 0
		.amdhsa_next_free_vgpr 4
		.amdhsa_next_free_sgpr 7
		.amdhsa_named_barrier_count 0
		.amdhsa_reserve_vcc 0
		.amdhsa_float_round_mode_32 0
		.amdhsa_float_round_mode_16_64 0
		.amdhsa_float_denorm_mode_32 3
		.amdhsa_float_denorm_mode_16_64 3
		.amdhsa_fp16_overflow 0
		.amdhsa_memory_ordered 1
		.amdhsa_forward_progress 1
		.amdhsa_inst_pref_size 2
		.amdhsa_round_robin_scheduling 0
		.amdhsa_exception_fp_ieee_invalid_op 0
		.amdhsa_exception_fp_denorm_src 0
		.amdhsa_exception_fp_ieee_div_zero 0
		.amdhsa_exception_fp_ieee_overflow 0
		.amdhsa_exception_fp_ieee_underflow 0
		.amdhsa_exception_fp_ieee_inexact 0
		.amdhsa_exception_int_div_zero 0
	.end_amdhsa_kernel
	.section	.text._Z30warp_striped_to_blocked_kernelIxxLj512ELj1EEvPT_PT0_,"axG",@progbits,_Z30warp_striped_to_blocked_kernelIxxLj512ELj1EEvPT_PT0_,comdat
.Lfunc_end68:
	.size	_Z30warp_striped_to_blocked_kernelIxxLj512ELj1EEvPT_PT0_, .Lfunc_end68-_Z30warp_striped_to_blocked_kernelIxxLj512ELj1EEvPT_PT0_
                                        ; -- End function
	.set _Z30warp_striped_to_blocked_kernelIxxLj512ELj1EEvPT_PT0_.num_vgpr, 4
	.set _Z30warp_striped_to_blocked_kernelIxxLj512ELj1EEvPT_PT0_.num_agpr, 0
	.set _Z30warp_striped_to_blocked_kernelIxxLj512ELj1EEvPT_PT0_.numbered_sgpr, 7
	.set _Z30warp_striped_to_blocked_kernelIxxLj512ELj1EEvPT_PT0_.num_named_barrier, 0
	.set _Z30warp_striped_to_blocked_kernelIxxLj512ELj1EEvPT_PT0_.private_seg_size, 0
	.set _Z30warp_striped_to_blocked_kernelIxxLj512ELj1EEvPT_PT0_.uses_vcc, 0
	.set _Z30warp_striped_to_blocked_kernelIxxLj512ELj1EEvPT_PT0_.uses_flat_scratch, 0
	.set _Z30warp_striped_to_blocked_kernelIxxLj512ELj1EEvPT_PT0_.has_dyn_sized_stack, 0
	.set _Z30warp_striped_to_blocked_kernelIxxLj512ELj1EEvPT_PT0_.has_recursion, 0
	.set _Z30warp_striped_to_blocked_kernelIxxLj512ELj1EEvPT_PT0_.has_indirect_call, 0
	.section	.AMDGPU.csdata,"",@progbits
; Kernel info:
; codeLenInByte = 152
; TotalNumSgprs: 7
; NumVgprs: 4
; ScratchSize: 0
; MemoryBound: 0
; FloatMode: 240
; IeeeMode: 1
; LDSByteSize: 4096 bytes/workgroup (compile time only)
; SGPRBlocks: 0
; VGPRBlocks: 0
; NumSGPRsForWavesPerEU: 7
; NumVGPRsForWavesPerEU: 4
; NamedBarCnt: 0
; Occupancy: 16
; WaveLimiterHint : 0
; COMPUTE_PGM_RSRC2:SCRATCH_EN: 0
; COMPUTE_PGM_RSRC2:USER_SGPR: 2
; COMPUTE_PGM_RSRC2:TRAP_HANDLER: 0
; COMPUTE_PGM_RSRC2:TGID_X_EN: 1
; COMPUTE_PGM_RSRC2:TGID_Y_EN: 0
; COMPUTE_PGM_RSRC2:TGID_Z_EN: 0
; COMPUTE_PGM_RSRC2:TIDIG_COMP_CNT: 0
	.section	.text._Z30warp_striped_to_blocked_kernelIs5dummyIiELj256ELj1EEvPT_PT0_,"axG",@progbits,_Z30warp_striped_to_blocked_kernelIs5dummyIiELj256ELj1EEvPT_PT0_,comdat
	.protected	_Z30warp_striped_to_blocked_kernelIs5dummyIiELj256ELj1EEvPT_PT0_ ; -- Begin function _Z30warp_striped_to_blocked_kernelIs5dummyIiELj256ELj1EEvPT_PT0_
	.globl	_Z30warp_striped_to_blocked_kernelIs5dummyIiELj256ELj1EEvPT_PT0_
	.p2align	8
	.type	_Z30warp_striped_to_blocked_kernelIs5dummyIiELj256ELj1EEvPT_PT0_,@function
_Z30warp_striped_to_blocked_kernelIs5dummyIiELj256ELj1EEvPT_PT0_: ; @_Z30warp_striped_to_blocked_kernelIs5dummyIiELj256ELj1EEvPT_PT0_
; %bb.0:
	s_load_b128 s[0:3], s[0:1], 0x0
	s_bfe_u32 s4, ttmp6, 0x4000c
	s_and_b32 s5, ttmp6, 15
	s_add_co_i32 s4, s4, 1
	s_getreg_b32 s6, hwreg(HW_REG_IB_STS2, 6, 4)
	s_mul_i32 s4, ttmp9, s4
	v_mbcnt_lo_u32_b32 v2, -1, 0
	s_add_co_i32 s5, s5, s4
	s_cmp_eq_u32 s6, 0
	s_cselect_b32 s4, ttmp9, s5
	s_mov_b32 s5, 0
	s_lshl_b32 s4, s4, 8
	v_and_or_b32 v2, 0x1c0, v0, v2
	s_lshl_b64 s[6:7], s[4:5], 1
	s_delay_alu instid0(VALU_DEP_1)
	v_lshlrev_b32_e32 v2, 1, v2
	s_wait_kmcnt 0x0
	s_add_nc_u64 s[0:1], s[0:1], s[6:7]
	global_load_u16 v1, v0, s[0:1] scale_offset
	s_wait_xcnt 0x0
	s_lshl_b64 s[0:1], s[4:5], 3
	s_delay_alu instid0(SALU_CYCLE_1)
	s_add_nc_u64 s[0:1], s[2:3], s[0:1]
	s_wait_loadcnt 0x0
	ds_store_b16 v2, v1
	; wave barrier
	ds_load_i16 v1, v2
	s_wait_dscnt 0x0
	v_dual_lshlrev_b32 v3, 1, v1 :: v_dual_add_nc_u32 v2, 1, v1
	global_store_b64 v0, v[2:3], s[0:1] scale_offset
	s_endpgm
	.section	.rodata,"a",@progbits
	.p2align	6, 0x0
	.amdhsa_kernel _Z30warp_striped_to_blocked_kernelIs5dummyIiELj256ELj1EEvPT_PT0_
		.amdhsa_group_segment_fixed_size 512
		.amdhsa_private_segment_fixed_size 0
		.amdhsa_kernarg_size 16
		.amdhsa_user_sgpr_count 2
		.amdhsa_user_sgpr_dispatch_ptr 0
		.amdhsa_user_sgpr_queue_ptr 0
		.amdhsa_user_sgpr_kernarg_segment_ptr 1
		.amdhsa_user_sgpr_dispatch_id 0
		.amdhsa_user_sgpr_kernarg_preload_length 0
		.amdhsa_user_sgpr_kernarg_preload_offset 0
		.amdhsa_user_sgpr_private_segment_size 0
		.amdhsa_wavefront_size32 1
		.amdhsa_uses_dynamic_stack 0
		.amdhsa_enable_private_segment 0
		.amdhsa_system_sgpr_workgroup_id_x 1
		.amdhsa_system_sgpr_workgroup_id_y 0
		.amdhsa_system_sgpr_workgroup_id_z 0
		.amdhsa_system_sgpr_workgroup_info 0
		.amdhsa_system_vgpr_workitem_id 0
		.amdhsa_next_free_vgpr 4
		.amdhsa_next_free_sgpr 8
		.amdhsa_named_barrier_count 0
		.amdhsa_reserve_vcc 0
		.amdhsa_float_round_mode_32 0
		.amdhsa_float_round_mode_16_64 0
		.amdhsa_float_denorm_mode_32 3
		.amdhsa_float_denorm_mode_16_64 3
		.amdhsa_fp16_overflow 0
		.amdhsa_memory_ordered 1
		.amdhsa_forward_progress 1
		.amdhsa_inst_pref_size 2
		.amdhsa_round_robin_scheduling 0
		.amdhsa_exception_fp_ieee_invalid_op 0
		.amdhsa_exception_fp_denorm_src 0
		.amdhsa_exception_fp_ieee_div_zero 0
		.amdhsa_exception_fp_ieee_overflow 0
		.amdhsa_exception_fp_ieee_underflow 0
		.amdhsa_exception_fp_ieee_inexact 0
		.amdhsa_exception_int_div_zero 0
	.end_amdhsa_kernel
	.section	.text._Z30warp_striped_to_blocked_kernelIs5dummyIiELj256ELj1EEvPT_PT0_,"axG",@progbits,_Z30warp_striped_to_blocked_kernelIs5dummyIiELj256ELj1EEvPT_PT0_,comdat
.Lfunc_end69:
	.size	_Z30warp_striped_to_blocked_kernelIs5dummyIiELj256ELj1EEvPT_PT0_, .Lfunc_end69-_Z30warp_striped_to_blocked_kernelIs5dummyIiELj256ELj1EEvPT_PT0_
                                        ; -- End function
	.set _Z30warp_striped_to_blocked_kernelIs5dummyIiELj256ELj1EEvPT_PT0_.num_vgpr, 4
	.set _Z30warp_striped_to_blocked_kernelIs5dummyIiELj256ELj1EEvPT_PT0_.num_agpr, 0
	.set _Z30warp_striped_to_blocked_kernelIs5dummyIiELj256ELj1EEvPT_PT0_.numbered_sgpr, 8
	.set _Z30warp_striped_to_blocked_kernelIs5dummyIiELj256ELj1EEvPT_PT0_.num_named_barrier, 0
	.set _Z30warp_striped_to_blocked_kernelIs5dummyIiELj256ELj1EEvPT_PT0_.private_seg_size, 0
	.set _Z30warp_striped_to_blocked_kernelIs5dummyIiELj256ELj1EEvPT_PT0_.uses_vcc, 0
	.set _Z30warp_striped_to_blocked_kernelIs5dummyIiELj256ELj1EEvPT_PT0_.uses_flat_scratch, 0
	.set _Z30warp_striped_to_blocked_kernelIs5dummyIiELj256ELj1EEvPT_PT0_.has_dyn_sized_stack, 0
	.set _Z30warp_striped_to_blocked_kernelIs5dummyIiELj256ELj1EEvPT_PT0_.has_recursion, 0
	.set _Z30warp_striped_to_blocked_kernelIs5dummyIiELj256ELj1EEvPT_PT0_.has_indirect_call, 0
	.section	.AMDGPU.csdata,"",@progbits
; Kernel info:
; codeLenInByte = 172
; TotalNumSgprs: 8
; NumVgprs: 4
; ScratchSize: 0
; MemoryBound: 0
; FloatMode: 240
; IeeeMode: 1
; LDSByteSize: 512 bytes/workgroup (compile time only)
; SGPRBlocks: 0
; VGPRBlocks: 0
; NumSGPRsForWavesPerEU: 8
; NumVGPRsForWavesPerEU: 4
; NamedBarCnt: 0
; Occupancy: 16
; WaveLimiterHint : 0
; COMPUTE_PGM_RSRC2:SCRATCH_EN: 0
; COMPUTE_PGM_RSRC2:USER_SGPR: 2
; COMPUTE_PGM_RSRC2:TRAP_HANDLER: 0
; COMPUTE_PGM_RSRC2:TGID_X_EN: 1
; COMPUTE_PGM_RSRC2:TGID_Y_EN: 0
; COMPUTE_PGM_RSRC2:TGID_Z_EN: 0
; COMPUTE_PGM_RSRC2:TIDIG_COMP_CNT: 0
	.section	.text._Z30warp_striped_to_blocked_kernelIyyLj128ELj1EEvPT_PT0_,"axG",@progbits,_Z30warp_striped_to_blocked_kernelIyyLj128ELj1EEvPT_PT0_,comdat
	.protected	_Z30warp_striped_to_blocked_kernelIyyLj128ELj1EEvPT_PT0_ ; -- Begin function _Z30warp_striped_to_blocked_kernelIyyLj128ELj1EEvPT_PT0_
	.globl	_Z30warp_striped_to_blocked_kernelIyyLj128ELj1EEvPT_PT0_
	.p2align	8
	.type	_Z30warp_striped_to_blocked_kernelIyyLj128ELj1EEvPT_PT0_,@function
_Z30warp_striped_to_blocked_kernelIyyLj128ELj1EEvPT_PT0_: ; @_Z30warp_striped_to_blocked_kernelIyyLj128ELj1EEvPT_PT0_
; %bb.0:
	s_load_b128 s[0:3], s[0:1], 0x0
	s_bfe_u32 s4, ttmp6, 0x4000c
	s_and_b32 s5, ttmp6, 15
	s_add_co_i32 s4, s4, 1
	s_getreg_b32 s6, hwreg(HW_REG_IB_STS2, 6, 4)
	s_mul_i32 s4, ttmp9, s4
	v_mbcnt_lo_u32_b32 v1, -1, 0
	s_add_co_i32 s5, s5, s4
	s_cmp_eq_u32 s6, 0
	s_cselect_b32 s4, ttmp9, s5
	s_mov_b32 s5, 0
	s_lshl_b32 s4, s4, 7
	v_and_or_b32 v1, 0x1c0, v0, v1
	s_lshl_b64 s[4:5], s[4:5], 3
	s_delay_alu instid0(VALU_DEP_1)
	v_lshlrev_b32_e32 v1, 3, v1
	s_wait_kmcnt 0x0
	s_add_nc_u64 s[0:1], s[0:1], s[4:5]
	global_load_b64 v[2:3], v0, s[0:1] scale_offset
	s_wait_xcnt 0x0
	s_add_nc_u64 s[0:1], s[2:3], s[4:5]
	s_wait_loadcnt 0x0
	ds_store_b64 v1, v[2:3]
	; wave barrier
	ds_load_b64 v[2:3], v1
	s_wait_dscnt 0x0
	global_store_b64 v0, v[2:3], s[0:1] scale_offset
	s_endpgm
	.section	.rodata,"a",@progbits
	.p2align	6, 0x0
	.amdhsa_kernel _Z30warp_striped_to_blocked_kernelIyyLj128ELj1EEvPT_PT0_
		.amdhsa_group_segment_fixed_size 1024
		.amdhsa_private_segment_fixed_size 0
		.amdhsa_kernarg_size 16
		.amdhsa_user_sgpr_count 2
		.amdhsa_user_sgpr_dispatch_ptr 0
		.amdhsa_user_sgpr_queue_ptr 0
		.amdhsa_user_sgpr_kernarg_segment_ptr 1
		.amdhsa_user_sgpr_dispatch_id 0
		.amdhsa_user_sgpr_kernarg_preload_length 0
		.amdhsa_user_sgpr_kernarg_preload_offset 0
		.amdhsa_user_sgpr_private_segment_size 0
		.amdhsa_wavefront_size32 1
		.amdhsa_uses_dynamic_stack 0
		.amdhsa_enable_private_segment 0
		.amdhsa_system_sgpr_workgroup_id_x 1
		.amdhsa_system_sgpr_workgroup_id_y 0
		.amdhsa_system_sgpr_workgroup_id_z 0
		.amdhsa_system_sgpr_workgroup_info 0
		.amdhsa_system_vgpr_workitem_id 0
		.amdhsa_next_free_vgpr 4
		.amdhsa_next_free_sgpr 7
		.amdhsa_named_barrier_count 0
		.amdhsa_reserve_vcc 0
		.amdhsa_float_round_mode_32 0
		.amdhsa_float_round_mode_16_64 0
		.amdhsa_float_denorm_mode_32 3
		.amdhsa_float_denorm_mode_16_64 3
		.amdhsa_fp16_overflow 0
		.amdhsa_memory_ordered 1
		.amdhsa_forward_progress 1
		.amdhsa_inst_pref_size 2
		.amdhsa_round_robin_scheduling 0
		.amdhsa_exception_fp_ieee_invalid_op 0
		.amdhsa_exception_fp_denorm_src 0
		.amdhsa_exception_fp_ieee_div_zero 0
		.amdhsa_exception_fp_ieee_overflow 0
		.amdhsa_exception_fp_ieee_underflow 0
		.amdhsa_exception_fp_ieee_inexact 0
		.amdhsa_exception_int_div_zero 0
	.end_amdhsa_kernel
	.section	.text._Z30warp_striped_to_blocked_kernelIyyLj128ELj1EEvPT_PT0_,"axG",@progbits,_Z30warp_striped_to_blocked_kernelIyyLj128ELj1EEvPT_PT0_,comdat
.Lfunc_end70:
	.size	_Z30warp_striped_to_blocked_kernelIyyLj128ELj1EEvPT_PT0_, .Lfunc_end70-_Z30warp_striped_to_blocked_kernelIyyLj128ELj1EEvPT_PT0_
                                        ; -- End function
	.set _Z30warp_striped_to_blocked_kernelIyyLj128ELj1EEvPT_PT0_.num_vgpr, 4
	.set _Z30warp_striped_to_blocked_kernelIyyLj128ELj1EEvPT_PT0_.num_agpr, 0
	.set _Z30warp_striped_to_blocked_kernelIyyLj128ELj1EEvPT_PT0_.numbered_sgpr, 7
	.set _Z30warp_striped_to_blocked_kernelIyyLj128ELj1EEvPT_PT0_.num_named_barrier, 0
	.set _Z30warp_striped_to_blocked_kernelIyyLj128ELj1EEvPT_PT0_.private_seg_size, 0
	.set _Z30warp_striped_to_blocked_kernelIyyLj128ELj1EEvPT_PT0_.uses_vcc, 0
	.set _Z30warp_striped_to_blocked_kernelIyyLj128ELj1EEvPT_PT0_.uses_flat_scratch, 0
	.set _Z30warp_striped_to_blocked_kernelIyyLj128ELj1EEvPT_PT0_.has_dyn_sized_stack, 0
	.set _Z30warp_striped_to_blocked_kernelIyyLj128ELj1EEvPT_PT0_.has_recursion, 0
	.set _Z30warp_striped_to_blocked_kernelIyyLj128ELj1EEvPT_PT0_.has_indirect_call, 0
	.section	.AMDGPU.csdata,"",@progbits
; Kernel info:
; codeLenInByte = 152
; TotalNumSgprs: 7
; NumVgprs: 4
; ScratchSize: 0
; MemoryBound: 0
; FloatMode: 240
; IeeeMode: 1
; LDSByteSize: 1024 bytes/workgroup (compile time only)
; SGPRBlocks: 0
; VGPRBlocks: 0
; NumSGPRsForWavesPerEU: 7
; NumVGPRsForWavesPerEU: 4
; NamedBarCnt: 0
; Occupancy: 16
; WaveLimiterHint : 0
; COMPUTE_PGM_RSRC2:SCRATCH_EN: 0
; COMPUTE_PGM_RSRC2:USER_SGPR: 2
; COMPUTE_PGM_RSRC2:TRAP_HANDLER: 0
; COMPUTE_PGM_RSRC2:TGID_X_EN: 1
; COMPUTE_PGM_RSRC2:TGID_Y_EN: 0
; COMPUTE_PGM_RSRC2:TGID_Z_EN: 0
; COMPUTE_PGM_RSRC2:TIDIG_COMP_CNT: 0
	.section	.text._Z30warp_striped_to_blocked_kernelIixLj64ELj1EEvPT_PT0_,"axG",@progbits,_Z30warp_striped_to_blocked_kernelIixLj64ELj1EEvPT_PT0_,comdat
	.protected	_Z30warp_striped_to_blocked_kernelIixLj64ELj1EEvPT_PT0_ ; -- Begin function _Z30warp_striped_to_blocked_kernelIixLj64ELj1EEvPT_PT0_
	.globl	_Z30warp_striped_to_blocked_kernelIixLj64ELj1EEvPT_PT0_
	.p2align	8
	.type	_Z30warp_striped_to_blocked_kernelIixLj64ELj1EEvPT_PT0_,@function
_Z30warp_striped_to_blocked_kernelIixLj64ELj1EEvPT_PT0_: ; @_Z30warp_striped_to_blocked_kernelIixLj64ELj1EEvPT_PT0_
; %bb.0:
	s_load_b128 s[0:3], s[0:1], 0x0
	s_bfe_u32 s4, ttmp6, 0x4000c
	s_and_b32 s5, ttmp6, 15
	s_add_co_i32 s4, s4, 1
	s_getreg_b32 s6, hwreg(HW_REG_IB_STS2, 6, 4)
	s_mul_i32 s4, ttmp9, s4
	v_mbcnt_lo_u32_b32 v2, -1, 0
	s_add_co_i32 s5, s5, s4
	s_cmp_eq_u32 s6, 0
	s_cselect_b32 s4, ttmp9, s5
	s_mov_b32 s5, 0
	s_lshl_b32 s4, s4, 6
	v_and_or_b32 v2, 0x1c0, v0, v2
	s_lshl_b64 s[6:7], s[4:5], 2
	s_delay_alu instid0(VALU_DEP_1)
	v_lshlrev_b32_e32 v2, 2, v2
	s_wait_kmcnt 0x0
	s_add_nc_u64 s[0:1], s[0:1], s[6:7]
	global_load_b32 v1, v0, s[0:1] scale_offset
	s_wait_xcnt 0x0
	s_lshl_b64 s[0:1], s[4:5], 3
	s_delay_alu instid0(SALU_CYCLE_1)
	s_add_nc_u64 s[0:1], s[2:3], s[0:1]
	s_wait_loadcnt 0x0
	ds_store_b32 v2, v1
	; wave barrier
	ds_load_b32 v2, v2
	s_wait_dscnt 0x0
	v_ashrrev_i32_e32 v3, 31, v2
	global_store_b64 v0, v[2:3], s[0:1] scale_offset
	s_endpgm
	.section	.rodata,"a",@progbits
	.p2align	6, 0x0
	.amdhsa_kernel _Z30warp_striped_to_blocked_kernelIixLj64ELj1EEvPT_PT0_
		.amdhsa_group_segment_fixed_size 256
		.amdhsa_private_segment_fixed_size 0
		.amdhsa_kernarg_size 16
		.amdhsa_user_sgpr_count 2
		.amdhsa_user_sgpr_dispatch_ptr 0
		.amdhsa_user_sgpr_queue_ptr 0
		.amdhsa_user_sgpr_kernarg_segment_ptr 1
		.amdhsa_user_sgpr_dispatch_id 0
		.amdhsa_user_sgpr_kernarg_preload_length 0
		.amdhsa_user_sgpr_kernarg_preload_offset 0
		.amdhsa_user_sgpr_private_segment_size 0
		.amdhsa_wavefront_size32 1
		.amdhsa_uses_dynamic_stack 0
		.amdhsa_enable_private_segment 0
		.amdhsa_system_sgpr_workgroup_id_x 1
		.amdhsa_system_sgpr_workgroup_id_y 0
		.amdhsa_system_sgpr_workgroup_id_z 0
		.amdhsa_system_sgpr_workgroup_info 0
		.amdhsa_system_vgpr_workitem_id 0
		.amdhsa_next_free_vgpr 4
		.amdhsa_next_free_sgpr 8
		.amdhsa_named_barrier_count 0
		.amdhsa_reserve_vcc 0
		.amdhsa_float_round_mode_32 0
		.amdhsa_float_round_mode_16_64 0
		.amdhsa_float_denorm_mode_32 3
		.amdhsa_float_denorm_mode_16_64 3
		.amdhsa_fp16_overflow 0
		.amdhsa_memory_ordered 1
		.amdhsa_forward_progress 1
		.amdhsa_inst_pref_size 2
		.amdhsa_round_robin_scheduling 0
		.amdhsa_exception_fp_ieee_invalid_op 0
		.amdhsa_exception_fp_denorm_src 0
		.amdhsa_exception_fp_ieee_div_zero 0
		.amdhsa_exception_fp_ieee_overflow 0
		.amdhsa_exception_fp_ieee_underflow 0
		.amdhsa_exception_fp_ieee_inexact 0
		.amdhsa_exception_int_div_zero 0
	.end_amdhsa_kernel
	.section	.text._Z30warp_striped_to_blocked_kernelIixLj64ELj1EEvPT_PT0_,"axG",@progbits,_Z30warp_striped_to_blocked_kernelIixLj64ELj1EEvPT_PT0_,comdat
.Lfunc_end71:
	.size	_Z30warp_striped_to_blocked_kernelIixLj64ELj1EEvPT_PT0_, .Lfunc_end71-_Z30warp_striped_to_blocked_kernelIixLj64ELj1EEvPT_PT0_
                                        ; -- End function
	.set _Z30warp_striped_to_blocked_kernelIixLj64ELj1EEvPT_PT0_.num_vgpr, 4
	.set _Z30warp_striped_to_blocked_kernelIixLj64ELj1EEvPT_PT0_.num_agpr, 0
	.set _Z30warp_striped_to_blocked_kernelIixLj64ELj1EEvPT_PT0_.numbered_sgpr, 8
	.set _Z30warp_striped_to_blocked_kernelIixLj64ELj1EEvPT_PT0_.num_named_barrier, 0
	.set _Z30warp_striped_to_blocked_kernelIixLj64ELj1EEvPT_PT0_.private_seg_size, 0
	.set _Z30warp_striped_to_blocked_kernelIixLj64ELj1EEvPT_PT0_.uses_vcc, 0
	.set _Z30warp_striped_to_blocked_kernelIixLj64ELj1EEvPT_PT0_.uses_flat_scratch, 0
	.set _Z30warp_striped_to_blocked_kernelIixLj64ELj1EEvPT_PT0_.has_dyn_sized_stack, 0
	.set _Z30warp_striped_to_blocked_kernelIixLj64ELj1EEvPT_PT0_.has_recursion, 0
	.set _Z30warp_striped_to_blocked_kernelIixLj64ELj1EEvPT_PT0_.has_indirect_call, 0
	.section	.AMDGPU.csdata,"",@progbits
; Kernel info:
; codeLenInByte = 164
; TotalNumSgprs: 8
; NumVgprs: 4
; ScratchSize: 0
; MemoryBound: 0
; FloatMode: 240
; IeeeMode: 1
; LDSByteSize: 256 bytes/workgroup (compile time only)
; SGPRBlocks: 0
; VGPRBlocks: 0
; NumSGPRsForWavesPerEU: 8
; NumVGPRsForWavesPerEU: 4
; NamedBarCnt: 0
; Occupancy: 16
; WaveLimiterHint : 0
; COMPUTE_PGM_RSRC2:SCRATCH_EN: 0
; COMPUTE_PGM_RSRC2:USER_SGPR: 2
; COMPUTE_PGM_RSRC2:TRAP_HANDLER: 0
; COMPUTE_PGM_RSRC2:TGID_X_EN: 1
; COMPUTE_PGM_RSRC2:TGID_Y_EN: 0
; COMPUTE_PGM_RSRC2:TGID_Z_EN: 0
; COMPUTE_PGM_RSRC2:TIDIG_COMP_CNT: 0
	.section	.text._Z30warp_striped_to_blocked_kernelI6__halfS0_Lj512ELj4EEvPT_PT0_,"axG",@progbits,_Z30warp_striped_to_blocked_kernelI6__halfS0_Lj512ELj4EEvPT_PT0_,comdat
	.protected	_Z30warp_striped_to_blocked_kernelI6__halfS0_Lj512ELj4EEvPT_PT0_ ; -- Begin function _Z30warp_striped_to_blocked_kernelI6__halfS0_Lj512ELj4EEvPT_PT0_
	.globl	_Z30warp_striped_to_blocked_kernelI6__halfS0_Lj512ELj4EEvPT_PT0_
	.p2align	8
	.type	_Z30warp_striped_to_blocked_kernelI6__halfS0_Lj512ELj4EEvPT_PT0_,@function
_Z30warp_striped_to_blocked_kernelI6__halfS0_Lj512ELj4EEvPT_PT0_: ; @_Z30warp_striped_to_blocked_kernelI6__halfS0_Lj512ELj4EEvPT_PT0_
; %bb.0:
	s_load_b128 s[0:3], s[0:1], 0x0
	s_bfe_u32 s4, ttmp6, 0x4000c
	s_and_b32 s5, ttmp6, 15
	s_add_co_i32 s4, s4, 1
	s_getreg_b32 s6, hwreg(HW_REG_IB_STS2, 6, 4)
	s_mul_i32 s4, ttmp9, s4
	v_mbcnt_lo_u32_b32 v1, -1, 0
	s_add_co_i32 s5, s5, s4
	s_cmp_eq_u32 s6, 0
	s_cselect_b32 s4, ttmp9, s5
	s_mov_b32 s5, 0
	s_lshl_b32 s4, s4, 9
	v_and_or_b32 v5, 0x1c0, v0, v1
	s_lshl_b64 s[4:5], s[4:5], 1
	s_delay_alu instid0(VALU_DEP_1) | instskip(NEXT) | instid1(VALU_DEP_1)
	v_dual_lshlrev_b32 v4, 2, v0 :: v_dual_lshrrev_b32 v6, 2, v5
	v_and_b32_e32 v4, 0x700, v4
	s_wait_kmcnt 0x0
	s_add_nc_u64 s[0:1], s[0:1], s[4:5]
	global_load_b64 v[2:3], v0, s[0:1] scale_offset
	v_and_b32_e32 v6, 0x74, v6
	v_or_b32_e32 v1, v1, v4
	v_or_b32_e32 v7, 64, v4
	;; [unrolled: 1-line block ×4, first 2 shown]
	s_delay_alu instid0(VALU_DEP_4) | instskip(NEXT) | instid1(VALU_DEP_3)
	v_dual_lshrrev_b32 v4, 4, v4 :: v_dual_lshlrev_b32 v1, 1, v1
	v_dual_lshrrev_b32 v7, 4, v7 :: v_dual_lshrrev_b32 v8, 4, v8
	s_delay_alu instid0(VALU_DEP_3) | instskip(SKIP_1) | instid1(VALU_DEP_3)
	v_lshrrev_b32_e32 v9, 4, v9
	v_lshl_add_u32 v5, v5, 3, v6
	v_dual_add_nc_u32 v4, v4, v1 :: v_dual_add_nc_u32 v7, v7, v1
	s_delay_alu instid0(VALU_DEP_3)
	v_dual_add_nc_u32 v8, v8, v1 :: v_dual_add_nc_u32 v1, v9, v1
	s_wait_xcnt 0x0
	s_add_nc_u64 s[0:1], s[2:3], s[4:5]
	s_wait_loadcnt 0x0
	ds_store_b16 v4, v2
	ds_store_b16_d16_hi v7, v2 offset:128
	ds_store_b16 v8, v3 offset:256
	ds_store_b16_d16_hi v1, v3 offset:384
	; wave barrier
	ds_load_2addr_b32 v[2:3], v5 offset1:1
	s_wait_dscnt 0x0
	global_store_b64 v0, v[2:3], s[0:1] scale_offset
	s_endpgm
	.section	.rodata,"a",@progbits
	.p2align	6, 0x0
	.amdhsa_kernel _Z30warp_striped_to_blocked_kernelI6__halfS0_Lj512ELj4EEvPT_PT0_
		.amdhsa_group_segment_fixed_size 1056
		.amdhsa_private_segment_fixed_size 0
		.amdhsa_kernarg_size 16
		.amdhsa_user_sgpr_count 2
		.amdhsa_user_sgpr_dispatch_ptr 0
		.amdhsa_user_sgpr_queue_ptr 0
		.amdhsa_user_sgpr_kernarg_segment_ptr 1
		.amdhsa_user_sgpr_dispatch_id 0
		.amdhsa_user_sgpr_kernarg_preload_length 0
		.amdhsa_user_sgpr_kernarg_preload_offset 0
		.amdhsa_user_sgpr_private_segment_size 0
		.amdhsa_wavefront_size32 1
		.amdhsa_uses_dynamic_stack 0
		.amdhsa_enable_private_segment 0
		.amdhsa_system_sgpr_workgroup_id_x 1
		.amdhsa_system_sgpr_workgroup_id_y 0
		.amdhsa_system_sgpr_workgroup_id_z 0
		.amdhsa_system_sgpr_workgroup_info 0
		.amdhsa_system_vgpr_workitem_id 0
		.amdhsa_next_free_vgpr 10
		.amdhsa_next_free_sgpr 7
		.amdhsa_named_barrier_count 0
		.amdhsa_reserve_vcc 0
		.amdhsa_float_round_mode_32 0
		.amdhsa_float_round_mode_16_64 0
		.amdhsa_float_denorm_mode_32 3
		.amdhsa_float_denorm_mode_16_64 3
		.amdhsa_fp16_overflow 0
		.amdhsa_memory_ordered 1
		.amdhsa_forward_progress 1
		.amdhsa_inst_pref_size 3
		.amdhsa_round_robin_scheduling 0
		.amdhsa_exception_fp_ieee_invalid_op 0
		.amdhsa_exception_fp_denorm_src 0
		.amdhsa_exception_fp_ieee_div_zero 0
		.amdhsa_exception_fp_ieee_overflow 0
		.amdhsa_exception_fp_ieee_underflow 0
		.amdhsa_exception_fp_ieee_inexact 0
		.amdhsa_exception_int_div_zero 0
	.end_amdhsa_kernel
	.section	.text._Z30warp_striped_to_blocked_kernelI6__halfS0_Lj512ELj4EEvPT_PT0_,"axG",@progbits,_Z30warp_striped_to_blocked_kernelI6__halfS0_Lj512ELj4EEvPT_PT0_,comdat
.Lfunc_end72:
	.size	_Z30warp_striped_to_blocked_kernelI6__halfS0_Lj512ELj4EEvPT_PT0_, .Lfunc_end72-_Z30warp_striped_to_blocked_kernelI6__halfS0_Lj512ELj4EEvPT_PT0_
                                        ; -- End function
	.set _Z30warp_striped_to_blocked_kernelI6__halfS0_Lj512ELj4EEvPT_PT0_.num_vgpr, 10
	.set _Z30warp_striped_to_blocked_kernelI6__halfS0_Lj512ELj4EEvPT_PT0_.num_agpr, 0
	.set _Z30warp_striped_to_blocked_kernelI6__halfS0_Lj512ELj4EEvPT_PT0_.numbered_sgpr, 7
	.set _Z30warp_striped_to_blocked_kernelI6__halfS0_Lj512ELj4EEvPT_PT0_.num_named_barrier, 0
	.set _Z30warp_striped_to_blocked_kernelI6__halfS0_Lj512ELj4EEvPT_PT0_.private_seg_size, 0
	.set _Z30warp_striped_to_blocked_kernelI6__halfS0_Lj512ELj4EEvPT_PT0_.uses_vcc, 0
	.set _Z30warp_striped_to_blocked_kernelI6__halfS0_Lj512ELj4EEvPT_PT0_.uses_flat_scratch, 0
	.set _Z30warp_striped_to_blocked_kernelI6__halfS0_Lj512ELj4EEvPT_PT0_.has_dyn_sized_stack, 0
	.set _Z30warp_striped_to_blocked_kernelI6__halfS0_Lj512ELj4EEvPT_PT0_.has_recursion, 0
	.set _Z30warp_striped_to_blocked_kernelI6__halfS0_Lj512ELj4EEvPT_PT0_.has_indirect_call, 0
	.section	.AMDGPU.csdata,"",@progbits
; Kernel info:
; codeLenInByte = 296
; TotalNumSgprs: 7
; NumVgprs: 10
; ScratchSize: 0
; MemoryBound: 0
; FloatMode: 240
; IeeeMode: 1
; LDSByteSize: 1056 bytes/workgroup (compile time only)
; SGPRBlocks: 0
; VGPRBlocks: 0
; NumSGPRsForWavesPerEU: 7
; NumVGPRsForWavesPerEU: 10
; NamedBarCnt: 0
; Occupancy: 16
; WaveLimiterHint : 0
; COMPUTE_PGM_RSRC2:SCRATCH_EN: 0
; COMPUTE_PGM_RSRC2:USER_SGPR: 2
; COMPUTE_PGM_RSRC2:TRAP_HANDLER: 0
; COMPUTE_PGM_RSRC2:TGID_X_EN: 1
; COMPUTE_PGM_RSRC2:TGID_Y_EN: 0
; COMPUTE_PGM_RSRC2:TGID_Z_EN: 0
; COMPUTE_PGM_RSRC2:TIDIG_COMP_CNT: 0
	.section	.text._Z30warp_striped_to_blocked_kernelI12hip_bfloat16S0_Lj512ELj4EEvPT_PT0_,"axG",@progbits,_Z30warp_striped_to_blocked_kernelI12hip_bfloat16S0_Lj512ELj4EEvPT_PT0_,comdat
	.protected	_Z30warp_striped_to_blocked_kernelI12hip_bfloat16S0_Lj512ELj4EEvPT_PT0_ ; -- Begin function _Z30warp_striped_to_blocked_kernelI12hip_bfloat16S0_Lj512ELj4EEvPT_PT0_
	.globl	_Z30warp_striped_to_blocked_kernelI12hip_bfloat16S0_Lj512ELj4EEvPT_PT0_
	.p2align	8
	.type	_Z30warp_striped_to_blocked_kernelI12hip_bfloat16S0_Lj512ELj4EEvPT_PT0_,@function
_Z30warp_striped_to_blocked_kernelI12hip_bfloat16S0_Lj512ELj4EEvPT_PT0_: ; @_Z30warp_striped_to_blocked_kernelI12hip_bfloat16S0_Lj512ELj4EEvPT_PT0_
; %bb.0:
	s_load_b128 s[0:3], s[0:1], 0x0
	s_bfe_u32 s4, ttmp6, 0x4000c
	s_and_b32 s5, ttmp6, 15
	s_add_co_i32 s4, s4, 1
	s_getreg_b32 s6, hwreg(HW_REG_IB_STS2, 6, 4)
	s_mul_i32 s4, ttmp9, s4
	v_mbcnt_lo_u32_b32 v1, -1, 0
	s_add_co_i32 s5, s5, s4
	s_cmp_eq_u32 s6, 0
	s_cselect_b32 s4, ttmp9, s5
	s_mov_b32 s5, 0
	s_lshl_b32 s4, s4, 9
	v_and_or_b32 v5, 0x1c0, v0, v1
	s_lshl_b64 s[4:5], s[4:5], 1
	s_delay_alu instid0(VALU_DEP_1) | instskip(NEXT) | instid1(VALU_DEP_1)
	v_dual_lshlrev_b32 v4, 2, v0 :: v_dual_lshrrev_b32 v6, 2, v5
	v_and_b32_e32 v4, 0x700, v4
	s_wait_kmcnt 0x0
	s_add_nc_u64 s[0:1], s[0:1], s[4:5]
	global_load_b64 v[2:3], v0, s[0:1] scale_offset
	v_and_b32_e32 v6, 0x74, v6
	v_or_b32_e32 v1, v1, v4
	v_or_b32_e32 v7, 64, v4
	;; [unrolled: 1-line block ×4, first 2 shown]
	s_delay_alu instid0(VALU_DEP_4) | instskip(NEXT) | instid1(VALU_DEP_3)
	v_dual_lshrrev_b32 v4, 4, v4 :: v_dual_lshlrev_b32 v1, 1, v1
	v_dual_lshrrev_b32 v7, 4, v7 :: v_dual_lshrrev_b32 v8, 4, v8
	s_delay_alu instid0(VALU_DEP_3) | instskip(SKIP_1) | instid1(VALU_DEP_3)
	v_lshrrev_b32_e32 v9, 4, v9
	v_lshl_add_u32 v5, v5, 3, v6
	v_dual_add_nc_u32 v4, v4, v1 :: v_dual_add_nc_u32 v7, v7, v1
	s_delay_alu instid0(VALU_DEP_3)
	v_dual_add_nc_u32 v8, v8, v1 :: v_dual_add_nc_u32 v1, v9, v1
	s_wait_xcnt 0x0
	s_add_nc_u64 s[0:1], s[2:3], s[4:5]
	s_wait_loadcnt 0x0
	ds_store_b16 v4, v2
	ds_store_b16_d16_hi v7, v2 offset:128
	ds_store_b16 v8, v3 offset:256
	ds_store_b16_d16_hi v1, v3 offset:384
	; wave barrier
	ds_load_2addr_b32 v[2:3], v5 offset1:1
	s_wait_dscnt 0x0
	global_store_b64 v0, v[2:3], s[0:1] scale_offset
	s_endpgm
	.section	.rodata,"a",@progbits
	.p2align	6, 0x0
	.amdhsa_kernel _Z30warp_striped_to_blocked_kernelI12hip_bfloat16S0_Lj512ELj4EEvPT_PT0_
		.amdhsa_group_segment_fixed_size 1056
		.amdhsa_private_segment_fixed_size 0
		.amdhsa_kernarg_size 16
		.amdhsa_user_sgpr_count 2
		.amdhsa_user_sgpr_dispatch_ptr 0
		.amdhsa_user_sgpr_queue_ptr 0
		.amdhsa_user_sgpr_kernarg_segment_ptr 1
		.amdhsa_user_sgpr_dispatch_id 0
		.amdhsa_user_sgpr_kernarg_preload_length 0
		.amdhsa_user_sgpr_kernarg_preload_offset 0
		.amdhsa_user_sgpr_private_segment_size 0
		.amdhsa_wavefront_size32 1
		.amdhsa_uses_dynamic_stack 0
		.amdhsa_enable_private_segment 0
		.amdhsa_system_sgpr_workgroup_id_x 1
		.amdhsa_system_sgpr_workgroup_id_y 0
		.amdhsa_system_sgpr_workgroup_id_z 0
		.amdhsa_system_sgpr_workgroup_info 0
		.amdhsa_system_vgpr_workitem_id 0
		.amdhsa_next_free_vgpr 10
		.amdhsa_next_free_sgpr 7
		.amdhsa_named_barrier_count 0
		.amdhsa_reserve_vcc 0
		.amdhsa_float_round_mode_32 0
		.amdhsa_float_round_mode_16_64 0
		.amdhsa_float_denorm_mode_32 3
		.amdhsa_float_denorm_mode_16_64 3
		.amdhsa_fp16_overflow 0
		.amdhsa_memory_ordered 1
		.amdhsa_forward_progress 1
		.amdhsa_inst_pref_size 3
		.amdhsa_round_robin_scheduling 0
		.amdhsa_exception_fp_ieee_invalid_op 0
		.amdhsa_exception_fp_denorm_src 0
		.amdhsa_exception_fp_ieee_div_zero 0
		.amdhsa_exception_fp_ieee_overflow 0
		.amdhsa_exception_fp_ieee_underflow 0
		.amdhsa_exception_fp_ieee_inexact 0
		.amdhsa_exception_int_div_zero 0
	.end_amdhsa_kernel
	.section	.text._Z30warp_striped_to_blocked_kernelI12hip_bfloat16S0_Lj512ELj4EEvPT_PT0_,"axG",@progbits,_Z30warp_striped_to_blocked_kernelI12hip_bfloat16S0_Lj512ELj4EEvPT_PT0_,comdat
.Lfunc_end73:
	.size	_Z30warp_striped_to_blocked_kernelI12hip_bfloat16S0_Lj512ELj4EEvPT_PT0_, .Lfunc_end73-_Z30warp_striped_to_blocked_kernelI12hip_bfloat16S0_Lj512ELj4EEvPT_PT0_
                                        ; -- End function
	.set _Z30warp_striped_to_blocked_kernelI12hip_bfloat16S0_Lj512ELj4EEvPT_PT0_.num_vgpr, 10
	.set _Z30warp_striped_to_blocked_kernelI12hip_bfloat16S0_Lj512ELj4EEvPT_PT0_.num_agpr, 0
	.set _Z30warp_striped_to_blocked_kernelI12hip_bfloat16S0_Lj512ELj4EEvPT_PT0_.numbered_sgpr, 7
	.set _Z30warp_striped_to_blocked_kernelI12hip_bfloat16S0_Lj512ELj4EEvPT_PT0_.num_named_barrier, 0
	.set _Z30warp_striped_to_blocked_kernelI12hip_bfloat16S0_Lj512ELj4EEvPT_PT0_.private_seg_size, 0
	.set _Z30warp_striped_to_blocked_kernelI12hip_bfloat16S0_Lj512ELj4EEvPT_PT0_.uses_vcc, 0
	.set _Z30warp_striped_to_blocked_kernelI12hip_bfloat16S0_Lj512ELj4EEvPT_PT0_.uses_flat_scratch, 0
	.set _Z30warp_striped_to_blocked_kernelI12hip_bfloat16S0_Lj512ELj4EEvPT_PT0_.has_dyn_sized_stack, 0
	.set _Z30warp_striped_to_blocked_kernelI12hip_bfloat16S0_Lj512ELj4EEvPT_PT0_.has_recursion, 0
	.set _Z30warp_striped_to_blocked_kernelI12hip_bfloat16S0_Lj512ELj4EEvPT_PT0_.has_indirect_call, 0
	.section	.AMDGPU.csdata,"",@progbits
; Kernel info:
; codeLenInByte = 296
; TotalNumSgprs: 7
; NumVgprs: 10
; ScratchSize: 0
; MemoryBound: 0
; FloatMode: 240
; IeeeMode: 1
; LDSByteSize: 1056 bytes/workgroup (compile time only)
; SGPRBlocks: 0
; VGPRBlocks: 0
; NumSGPRsForWavesPerEU: 7
; NumVGPRsForWavesPerEU: 10
; NamedBarCnt: 0
; Occupancy: 16
; WaveLimiterHint : 0
; COMPUTE_PGM_RSRC2:SCRATCH_EN: 0
; COMPUTE_PGM_RSRC2:USER_SGPR: 2
; COMPUTE_PGM_RSRC2:TRAP_HANDLER: 0
; COMPUTE_PGM_RSRC2:TGID_X_EN: 1
; COMPUTE_PGM_RSRC2:TGID_Y_EN: 0
; COMPUTE_PGM_RSRC2:TGID_Z_EN: 0
; COMPUTE_PGM_RSRC2:TIDIG_COMP_CNT: 0
	.section	.text._Z30warp_striped_to_blocked_kernelIfdLj512ELj4EEvPT_PT0_,"axG",@progbits,_Z30warp_striped_to_blocked_kernelIfdLj512ELj4EEvPT_PT0_,comdat
	.protected	_Z30warp_striped_to_blocked_kernelIfdLj512ELj4EEvPT_PT0_ ; -- Begin function _Z30warp_striped_to_blocked_kernelIfdLj512ELj4EEvPT_PT0_
	.globl	_Z30warp_striped_to_blocked_kernelIfdLj512ELj4EEvPT_PT0_
	.p2align	8
	.type	_Z30warp_striped_to_blocked_kernelIfdLj512ELj4EEvPT_PT0_,@function
_Z30warp_striped_to_blocked_kernelIfdLj512ELj4EEvPT_PT0_: ; @_Z30warp_striped_to_blocked_kernelIfdLj512ELj4EEvPT_PT0_
; %bb.0:
	s_load_b128 s[0:3], s[0:1], 0x0
	s_bfe_u32 s4, ttmp6, 0x4000c
	s_and_b32 s5, ttmp6, 15
	s_add_co_i32 s4, s4, 1
	s_getreg_b32 s6, hwreg(HW_REG_IB_STS2, 6, 4)
	s_mul_i32 s4, ttmp9, s4
	v_mbcnt_lo_u32_b32 v1, -1, 0
	s_add_co_i32 s5, s5, s4
	s_cmp_eq_u32 s6, 0
	s_cselect_b32 s4, ttmp9, s5
	s_mov_b32 s5, 0
	s_lshl_b32 s4, s4, 9
	v_and_or_b32 v7, 0x1c0, v0, v1
	s_lshl_b64 s[6:7], s[4:5], 2
	s_delay_alu instid0(VALU_DEP_1) | instskip(SKIP_3) | instid1(VALU_DEP_2)
	v_dual_lshlrev_b32 v6, 2, v0 :: v_dual_lshlrev_b32 v8, 2, v7
	v_bfe_u32 v7, v7, 3, 27
	s_wait_kmcnt 0x0
	s_add_nc_u64 s[0:1], s[0:1], s[6:7]
	v_and_b32_e32 v6, 0x700, v6
	global_load_b128 v[2:5], v0, s[0:1] scale_offset
	s_wait_xcnt 0x0
	s_lshl_b64 s[0:1], s[4:5], 3
	v_add_lshl_u32 v7, v7, v8, 2
	v_dual_lshlrev_b32 v0, 5, v0 :: v_dual_bitop2_b32 v1, v1, v6 bitop3:0x54
	v_or_b32_e32 v9, 64, v6
	v_or_b32_e32 v10, 0x80, v6
	;; [unrolled: 1-line block ×3, first 2 shown]
	s_delay_alu instid0(VALU_DEP_4) | instskip(NEXT) | instid1(VALU_DEP_3)
	v_dual_lshrrev_b32 v6, 3, v6 :: v_dual_lshlrev_b32 v1, 2, v1
	v_dual_lshrrev_b32 v9, 3, v9 :: v_dual_lshrrev_b32 v10, 3, v10
	s_delay_alu instid0(VALU_DEP_3) | instskip(SKIP_1) | instid1(VALU_DEP_2)
	v_lshrrev_b32_e32 v11, 3, v11
	s_add_nc_u64 s[0:1], s[2:3], s[0:1]
	v_dual_add_nc_u32 v6, v6, v1 :: v_dual_add_nc_u32 v9, v9, v1
	s_delay_alu instid0(VALU_DEP_2)
	v_dual_add_nc_u32 v10, v10, v1 :: v_dual_add_nc_u32 v1, v11, v1
	s_wait_loadcnt 0x0
	ds_store_b32 v6, v2
	ds_store_b32 v9, v3 offset:256
	ds_store_b32 v10, v4 offset:512
	;; [unrolled: 1-line block ×3, first 2 shown]
	; wave barrier
	ds_load_2addr_b32 v[4:5], v7 offset1:1
	ds_load_2addr_b32 v[8:9], v7 offset0:2 offset1:3
	s_wait_dscnt 0x1
	v_cvt_f64_f32_e32 v[2:3], v4
	v_cvt_f64_f32_e32 v[4:5], v5
	s_wait_dscnt 0x0
	v_cvt_f64_f32_e32 v[6:7], v8
	v_cvt_f64_f32_e32 v[8:9], v9
	s_clause 0x1
	global_store_b128 v0, v[2:5], s[0:1]
	global_store_b128 v0, v[6:9], s[0:1] offset:16
	s_endpgm
	.section	.rodata,"a",@progbits
	.p2align	6, 0x0
	.amdhsa_kernel _Z30warp_striped_to_blocked_kernelIfdLj512ELj4EEvPT_PT0_
		.amdhsa_group_segment_fixed_size 2112
		.amdhsa_private_segment_fixed_size 0
		.amdhsa_kernarg_size 16
		.amdhsa_user_sgpr_count 2
		.amdhsa_user_sgpr_dispatch_ptr 0
		.amdhsa_user_sgpr_queue_ptr 0
		.amdhsa_user_sgpr_kernarg_segment_ptr 1
		.amdhsa_user_sgpr_dispatch_id 0
		.amdhsa_user_sgpr_kernarg_preload_length 0
		.amdhsa_user_sgpr_kernarg_preload_offset 0
		.amdhsa_user_sgpr_private_segment_size 0
		.amdhsa_wavefront_size32 1
		.amdhsa_uses_dynamic_stack 0
		.amdhsa_enable_private_segment 0
		.amdhsa_system_sgpr_workgroup_id_x 1
		.amdhsa_system_sgpr_workgroup_id_y 0
		.amdhsa_system_sgpr_workgroup_id_z 0
		.amdhsa_system_sgpr_workgroup_info 0
		.amdhsa_system_vgpr_workitem_id 0
		.amdhsa_next_free_vgpr 12
		.amdhsa_next_free_sgpr 8
		.amdhsa_named_barrier_count 0
		.amdhsa_reserve_vcc 0
		.amdhsa_float_round_mode_32 0
		.amdhsa_float_round_mode_16_64 0
		.amdhsa_float_denorm_mode_32 3
		.amdhsa_float_denorm_mode_16_64 3
		.amdhsa_fp16_overflow 0
		.amdhsa_memory_ordered 1
		.amdhsa_forward_progress 1
		.amdhsa_inst_pref_size 3
		.amdhsa_round_robin_scheduling 0
		.amdhsa_exception_fp_ieee_invalid_op 0
		.amdhsa_exception_fp_denorm_src 0
		.amdhsa_exception_fp_ieee_div_zero 0
		.amdhsa_exception_fp_ieee_overflow 0
		.amdhsa_exception_fp_ieee_underflow 0
		.amdhsa_exception_fp_ieee_inexact 0
		.amdhsa_exception_int_div_zero 0
	.end_amdhsa_kernel
	.section	.text._Z30warp_striped_to_blocked_kernelIfdLj512ELj4EEvPT_PT0_,"axG",@progbits,_Z30warp_striped_to_blocked_kernelIfdLj512ELj4EEvPT_PT0_,comdat
.Lfunc_end74:
	.size	_Z30warp_striped_to_blocked_kernelIfdLj512ELj4EEvPT_PT0_, .Lfunc_end74-_Z30warp_striped_to_blocked_kernelIfdLj512ELj4EEvPT_PT0_
                                        ; -- End function
	.set _Z30warp_striped_to_blocked_kernelIfdLj512ELj4EEvPT_PT0_.num_vgpr, 12
	.set _Z30warp_striped_to_blocked_kernelIfdLj512ELj4EEvPT_PT0_.num_agpr, 0
	.set _Z30warp_striped_to_blocked_kernelIfdLj512ELj4EEvPT_PT0_.numbered_sgpr, 8
	.set _Z30warp_striped_to_blocked_kernelIfdLj512ELj4EEvPT_PT0_.num_named_barrier, 0
	.set _Z30warp_striped_to_blocked_kernelIfdLj512ELj4EEvPT_PT0_.private_seg_size, 0
	.set _Z30warp_striped_to_blocked_kernelIfdLj512ELj4EEvPT_PT0_.uses_vcc, 0
	.set _Z30warp_striped_to_blocked_kernelIfdLj512ELj4EEvPT_PT0_.uses_flat_scratch, 0
	.set _Z30warp_striped_to_blocked_kernelIfdLj512ELj4EEvPT_PT0_.has_dyn_sized_stack, 0
	.set _Z30warp_striped_to_blocked_kernelIfdLj512ELj4EEvPT_PT0_.has_recursion, 0
	.set _Z30warp_striped_to_blocked_kernelIfdLj512ELj4EEvPT_PT0_.has_indirect_call, 0
	.section	.AMDGPU.csdata,"",@progbits
; Kernel info:
; codeLenInByte = 352
; TotalNumSgprs: 8
; NumVgprs: 12
; ScratchSize: 0
; MemoryBound: 0
; FloatMode: 240
; IeeeMode: 1
; LDSByteSize: 2112 bytes/workgroup (compile time only)
; SGPRBlocks: 0
; VGPRBlocks: 0
; NumSGPRsForWavesPerEU: 8
; NumVGPRsForWavesPerEU: 12
; NamedBarCnt: 0
; Occupancy: 16
; WaveLimiterHint : 0
; COMPUTE_PGM_RSRC2:SCRATCH_EN: 0
; COMPUTE_PGM_RSRC2:USER_SGPR: 2
; COMPUTE_PGM_RSRC2:TRAP_HANDLER: 0
; COMPUTE_PGM_RSRC2:TGID_X_EN: 1
; COMPUTE_PGM_RSRC2:TGID_Y_EN: 0
; COMPUTE_PGM_RSRC2:TGID_Z_EN: 0
; COMPUTE_PGM_RSRC2:TIDIG_COMP_CNT: 0
	.section	.text._Z30warp_striped_to_blocked_kernelIiiLj512ELj4EEvPT_PT0_,"axG",@progbits,_Z30warp_striped_to_blocked_kernelIiiLj512ELj4EEvPT_PT0_,comdat
	.protected	_Z30warp_striped_to_blocked_kernelIiiLj512ELj4EEvPT_PT0_ ; -- Begin function _Z30warp_striped_to_blocked_kernelIiiLj512ELj4EEvPT_PT0_
	.globl	_Z30warp_striped_to_blocked_kernelIiiLj512ELj4EEvPT_PT0_
	.p2align	8
	.type	_Z30warp_striped_to_blocked_kernelIiiLj512ELj4EEvPT_PT0_,@function
_Z30warp_striped_to_blocked_kernelIiiLj512ELj4EEvPT_PT0_: ; @_Z30warp_striped_to_blocked_kernelIiiLj512ELj4EEvPT_PT0_
; %bb.0:
	s_load_b128 s[0:3], s[0:1], 0x0
	s_bfe_u32 s4, ttmp6, 0x4000c
	s_and_b32 s5, ttmp6, 15
	s_add_co_i32 s4, s4, 1
	s_getreg_b32 s6, hwreg(HW_REG_IB_STS2, 6, 4)
	s_mul_i32 s4, ttmp9, s4
	v_mbcnt_lo_u32_b32 v1, -1, 0
	s_add_co_i32 s5, s5, s4
	s_cmp_eq_u32 s6, 0
	s_cselect_b32 s4, ttmp9, s5
	s_mov_b32 s5, 0
	s_lshl_b32 s4, s4, 9
	v_and_or_b32 v7, 0x1c0, v0, v1
	s_lshl_b64 s[4:5], s[4:5], 2
	s_delay_alu instid0(VALU_DEP_1) | instskip(SKIP_3) | instid1(VALU_DEP_2)
	v_dual_lshlrev_b32 v6, 2, v0 :: v_dual_lshlrev_b32 v8, 2, v7
	v_bfe_u32 v7, v7, 3, 27
	s_wait_kmcnt 0x0
	s_add_nc_u64 s[0:1], s[0:1], s[4:5]
	v_and_b32_e32 v6, 0x700, v6
	global_load_b128 v[2:5], v0, s[0:1] scale_offset
	s_wait_xcnt 0x0
	s_add_nc_u64 s[0:1], s[2:3], s[4:5]
	v_add_lshl_u32 v7, v7, v8, 2
	v_or_b32_e32 v1, v1, v6
	v_or_b32_e32 v9, 64, v6
	;; [unrolled: 1-line block ×4, first 2 shown]
	s_delay_alu instid0(VALU_DEP_4) | instskip(NEXT) | instid1(VALU_DEP_3)
	v_dual_lshrrev_b32 v6, 3, v6 :: v_dual_lshlrev_b32 v1, 2, v1
	v_dual_lshrrev_b32 v9, 3, v9 :: v_dual_lshrrev_b32 v10, 3, v10
	s_delay_alu instid0(VALU_DEP_2) | instskip(NEXT) | instid1(VALU_DEP_2)
	v_dual_lshrrev_b32 v11, 3, v11 :: v_dual_add_nc_u32 v6, v6, v1
	v_dual_add_nc_u32 v9, v9, v1 :: v_dual_add_nc_u32 v10, v10, v1
	s_delay_alu instid0(VALU_DEP_2)
	v_add_nc_u32_e32 v1, v11, v1
	s_wait_loadcnt 0x0
	ds_store_b32 v6, v2
	ds_store_b32 v9, v3 offset:256
	ds_store_b32 v10, v4 offset:512
	;; [unrolled: 1-line block ×3, first 2 shown]
	; wave barrier
	ds_load_2addr_b32 v[2:3], v7 offset1:1
	ds_load_2addr_b32 v[4:5], v7 offset0:2 offset1:3
	s_wait_dscnt 0x0
	global_store_b128 v0, v[2:5], s[0:1] scale_offset
	s_endpgm
	.section	.rodata,"a",@progbits
	.p2align	6, 0x0
	.amdhsa_kernel _Z30warp_striped_to_blocked_kernelIiiLj512ELj4EEvPT_PT0_
		.amdhsa_group_segment_fixed_size 2112
		.amdhsa_private_segment_fixed_size 0
		.amdhsa_kernarg_size 16
		.amdhsa_user_sgpr_count 2
		.amdhsa_user_sgpr_dispatch_ptr 0
		.amdhsa_user_sgpr_queue_ptr 0
		.amdhsa_user_sgpr_kernarg_segment_ptr 1
		.amdhsa_user_sgpr_dispatch_id 0
		.amdhsa_user_sgpr_kernarg_preload_length 0
		.amdhsa_user_sgpr_kernarg_preload_offset 0
		.amdhsa_user_sgpr_private_segment_size 0
		.amdhsa_wavefront_size32 1
		.amdhsa_uses_dynamic_stack 0
		.amdhsa_enable_private_segment 0
		.amdhsa_system_sgpr_workgroup_id_x 1
		.amdhsa_system_sgpr_workgroup_id_y 0
		.amdhsa_system_sgpr_workgroup_id_z 0
		.amdhsa_system_sgpr_workgroup_info 0
		.amdhsa_system_vgpr_workitem_id 0
		.amdhsa_next_free_vgpr 12
		.amdhsa_next_free_sgpr 7
		.amdhsa_named_barrier_count 0
		.amdhsa_reserve_vcc 0
		.amdhsa_float_round_mode_32 0
		.amdhsa_float_round_mode_16_64 0
		.amdhsa_float_denorm_mode_32 3
		.amdhsa_float_denorm_mode_16_64 3
		.amdhsa_fp16_overflow 0
		.amdhsa_memory_ordered 1
		.amdhsa_forward_progress 1
		.amdhsa_inst_pref_size 3
		.amdhsa_round_robin_scheduling 0
		.amdhsa_exception_fp_ieee_invalid_op 0
		.amdhsa_exception_fp_denorm_src 0
		.amdhsa_exception_fp_ieee_div_zero 0
		.amdhsa_exception_fp_ieee_overflow 0
		.amdhsa_exception_fp_ieee_underflow 0
		.amdhsa_exception_fp_ieee_inexact 0
		.amdhsa_exception_int_div_zero 0
	.end_amdhsa_kernel
	.section	.text._Z30warp_striped_to_blocked_kernelIiiLj512ELj4EEvPT_PT0_,"axG",@progbits,_Z30warp_striped_to_blocked_kernelIiiLj512ELj4EEvPT_PT0_,comdat
.Lfunc_end75:
	.size	_Z30warp_striped_to_blocked_kernelIiiLj512ELj4EEvPT_PT0_, .Lfunc_end75-_Z30warp_striped_to_blocked_kernelIiiLj512ELj4EEvPT_PT0_
                                        ; -- End function
	.set _Z30warp_striped_to_blocked_kernelIiiLj512ELj4EEvPT_PT0_.num_vgpr, 12
	.set _Z30warp_striped_to_blocked_kernelIiiLj512ELj4EEvPT_PT0_.num_agpr, 0
	.set _Z30warp_striped_to_blocked_kernelIiiLj512ELj4EEvPT_PT0_.numbered_sgpr, 7
	.set _Z30warp_striped_to_blocked_kernelIiiLj512ELj4EEvPT_PT0_.num_named_barrier, 0
	.set _Z30warp_striped_to_blocked_kernelIiiLj512ELj4EEvPT_PT0_.private_seg_size, 0
	.set _Z30warp_striped_to_blocked_kernelIiiLj512ELj4EEvPT_PT0_.uses_vcc, 0
	.set _Z30warp_striped_to_blocked_kernelIiiLj512ELj4EEvPT_PT0_.uses_flat_scratch, 0
	.set _Z30warp_striped_to_blocked_kernelIiiLj512ELj4EEvPT_PT0_.has_dyn_sized_stack, 0
	.set _Z30warp_striped_to_blocked_kernelIiiLj512ELj4EEvPT_PT0_.has_recursion, 0
	.set _Z30warp_striped_to_blocked_kernelIiiLj512ELj4EEvPT_PT0_.has_indirect_call, 0
	.section	.AMDGPU.csdata,"",@progbits
; Kernel info:
; codeLenInByte = 304
; TotalNumSgprs: 7
; NumVgprs: 12
; ScratchSize: 0
; MemoryBound: 0
; FloatMode: 240
; IeeeMode: 1
; LDSByteSize: 2112 bytes/workgroup (compile time only)
; SGPRBlocks: 0
; VGPRBlocks: 0
; NumSGPRsForWavesPerEU: 7
; NumVGPRsForWavesPerEU: 12
; NamedBarCnt: 0
; Occupancy: 16
; WaveLimiterHint : 0
; COMPUTE_PGM_RSRC2:SCRATCH_EN: 0
; COMPUTE_PGM_RSRC2:USER_SGPR: 2
; COMPUTE_PGM_RSRC2:TRAP_HANDLER: 0
; COMPUTE_PGM_RSRC2:TGID_X_EN: 1
; COMPUTE_PGM_RSRC2:TGID_Y_EN: 0
; COMPUTE_PGM_RSRC2:TGID_Z_EN: 0
; COMPUTE_PGM_RSRC2:TIDIG_COMP_CNT: 0
	.section	.text._Z25scatter_to_blocked_kernelIsiLj2106ELj9EEvPT_PT0_Pj,"axG",@progbits,_Z25scatter_to_blocked_kernelIsiLj2106ELj9EEvPT_PT0_Pj,comdat
	.protected	_Z25scatter_to_blocked_kernelIsiLj2106ELj9EEvPT_PT0_Pj ; -- Begin function _Z25scatter_to_blocked_kernelIsiLj2106ELj9EEvPT_PT0_Pj
	.globl	_Z25scatter_to_blocked_kernelIsiLj2106ELj9EEvPT_PT0_Pj
	.p2align	8
	.type	_Z25scatter_to_blocked_kernelIsiLj2106ELj9EEvPT_PT0_Pj,@function
_Z25scatter_to_blocked_kernelIsiLj2106ELj9EEvPT_PT0_Pj: ; @_Z25scatter_to_blocked_kernelIsiLj2106ELj9EEvPT_PT0_Pj
; %bb.0:
	s_clause 0x1
	s_load_b64 s[2:3], s[0:1], 0x10
	s_load_b128 s[4:7], s[0:1], 0x0
	s_wait_xcnt 0x0
	s_bfe_u32 s0, ttmp6, 0x4000c
	s_and_b32 s1, ttmp6, 15
	s_add_co_i32 s0, s0, 1
	s_getreg_b32 s8, hwreg(HW_REG_IB_STS2, 6, 4)
	s_mul_i32 s0, ttmp9, s0
	v_mul_u32_u24_e32 v12, 9, v0
	s_add_co_i32 s1, s1, s0
	s_cmp_eq_u32 s8, 0
	s_cselect_b32 s0, ttmp9, s1
	s_mov_b32 s1, 0
	s_mulk_i32 s0, 0x83a
	v_dual_lshlrev_b32 v13, 2, v12 :: v_dual_lshlrev_b32 v14, 1, v12
	s_lshl_b64 s[8:9], s[0:1], 2
	s_lshl_b64 s[0:1], s[0:1], 1
	s_wait_kmcnt 0x0
	s_add_nc_u64 s[2:3], s[2:3], s[8:9]
	s_add_nc_u64 s[0:1], s[4:5], s[0:1]
	s_clause 0x2
	global_load_b128 v[0:3], v13, s[2:3]
	global_load_b128 v[4:7], v13, s[2:3] offset:16
	global_load_b32 v15, v12, s[2:3] offset:32 scale_offset
	s_clause 0x1
	global_load_b128 v[8:11], v14, s[0:1]
	global_load_u16 v16, v12, s[0:1] offset:16 scale_offset
	s_wait_xcnt 0x0
	s_add_nc_u64 s[0:1], s[6:7], s[8:9]
	s_wait_loadcnt 0x2
	v_dual_lshlrev_b32 v15, 1, v15 :: v_dual_lshlrev_b32 v0, 1, v0
	v_dual_lshlrev_b32 v1, 1, v1 :: v_dual_lshlrev_b32 v2, 1, v2
	;; [unrolled: 1-line block ×4, first 2 shown]
	v_lshlrev_b32_e32 v7, 1, v7
	s_wait_loadcnt 0x1
	ds_store_b16 v0, v8
	ds_store_b16_d16_hi v1, v8
	ds_store_b16 v2, v9
	ds_store_b16_d16_hi v3, v9
	;; [unrolled: 2-line block ×4, first 2 shown]
	s_wait_loadcnt 0x0
	ds_store_b16 v15, v16
	s_wait_dscnt 0x0
	s_barrier_signal -1
	s_barrier_wait -1
	ds_load_b128 v[0:3], v14
	ds_load_i16 v14, v14 offset:16
	s_wait_dscnt 0x1
	v_dual_ashrrev_i32 v7, 16, v1 :: v_dual_ashrrev_i32 v9, 16, v2
	v_bfe_i32 v8, v2, 0, 16
	v_ashrrev_i32_e32 v11, 16, v3
	v_bfe_i32 v10, v3, 0, 16
	v_ashrrev_i32_e32 v5, 16, v0
	v_bfe_i32 v4, v0, 0, 16
	v_bfe_i32 v6, v1, 0, 16
	s_clause 0x1
	global_store_b128 v13, v[8:11], s[0:1] offset:16
	global_store_b128 v13, v[4:7], s[0:1]
	s_wait_dscnt 0x0
	global_store_b32 v12, v14, s[0:1] offset:32 scale_offset
	s_endpgm
	.section	.rodata,"a",@progbits
	.p2align	6, 0x0
	.amdhsa_kernel _Z25scatter_to_blocked_kernelIsiLj2106ELj9EEvPT_PT0_Pj
		.amdhsa_group_segment_fixed_size 4224
		.amdhsa_private_segment_fixed_size 0
		.amdhsa_kernarg_size 24
		.amdhsa_user_sgpr_count 2
		.amdhsa_user_sgpr_dispatch_ptr 0
		.amdhsa_user_sgpr_queue_ptr 0
		.amdhsa_user_sgpr_kernarg_segment_ptr 1
		.amdhsa_user_sgpr_dispatch_id 0
		.amdhsa_user_sgpr_kernarg_preload_length 0
		.amdhsa_user_sgpr_kernarg_preload_offset 0
		.amdhsa_user_sgpr_private_segment_size 0
		.amdhsa_wavefront_size32 1
		.amdhsa_uses_dynamic_stack 0
		.amdhsa_enable_private_segment 0
		.amdhsa_system_sgpr_workgroup_id_x 1
		.amdhsa_system_sgpr_workgroup_id_y 0
		.amdhsa_system_sgpr_workgroup_id_z 0
		.amdhsa_system_sgpr_workgroup_info 0
		.amdhsa_system_vgpr_workitem_id 0
		.amdhsa_next_free_vgpr 17
		.amdhsa_next_free_sgpr 10
		.amdhsa_named_barrier_count 0
		.amdhsa_reserve_vcc 0
		.amdhsa_float_round_mode_32 0
		.amdhsa_float_round_mode_16_64 0
		.amdhsa_float_denorm_mode_32 3
		.amdhsa_float_denorm_mode_16_64 3
		.amdhsa_fp16_overflow 0
		.amdhsa_memory_ordered 1
		.amdhsa_forward_progress 1
		.amdhsa_inst_pref_size 4
		.amdhsa_round_robin_scheduling 0
		.amdhsa_exception_fp_ieee_invalid_op 0
		.amdhsa_exception_fp_denorm_src 0
		.amdhsa_exception_fp_ieee_div_zero 0
		.amdhsa_exception_fp_ieee_overflow 0
		.amdhsa_exception_fp_ieee_underflow 0
		.amdhsa_exception_fp_ieee_inexact 0
		.amdhsa_exception_int_div_zero 0
	.end_amdhsa_kernel
	.section	.text._Z25scatter_to_blocked_kernelIsiLj2106ELj9EEvPT_PT0_Pj,"axG",@progbits,_Z25scatter_to_blocked_kernelIsiLj2106ELj9EEvPT_PT0_Pj,comdat
.Lfunc_end76:
	.size	_Z25scatter_to_blocked_kernelIsiLj2106ELj9EEvPT_PT0_Pj, .Lfunc_end76-_Z25scatter_to_blocked_kernelIsiLj2106ELj9EEvPT_PT0_Pj
                                        ; -- End function
	.set _Z25scatter_to_blocked_kernelIsiLj2106ELj9EEvPT_PT0_Pj.num_vgpr, 17
	.set _Z25scatter_to_blocked_kernelIsiLj2106ELj9EEvPT_PT0_Pj.num_agpr, 0
	.set _Z25scatter_to_blocked_kernelIsiLj2106ELj9EEvPT_PT0_Pj.numbered_sgpr, 10
	.set _Z25scatter_to_blocked_kernelIsiLj2106ELj9EEvPT_PT0_Pj.num_named_barrier, 0
	.set _Z25scatter_to_blocked_kernelIsiLj2106ELj9EEvPT_PT0_Pj.private_seg_size, 0
	.set _Z25scatter_to_blocked_kernelIsiLj2106ELj9EEvPT_PT0_Pj.uses_vcc, 0
	.set _Z25scatter_to_blocked_kernelIsiLj2106ELj9EEvPT_PT0_Pj.uses_flat_scratch, 0
	.set _Z25scatter_to_blocked_kernelIsiLj2106ELj9EEvPT_PT0_Pj.has_dyn_sized_stack, 0
	.set _Z25scatter_to_blocked_kernelIsiLj2106ELj9EEvPT_PT0_Pj.has_recursion, 0
	.set _Z25scatter_to_blocked_kernelIsiLj2106ELj9EEvPT_PT0_Pj.has_indirect_call, 0
	.section	.AMDGPU.csdata,"",@progbits
; Kernel info:
; codeLenInByte = 448
; TotalNumSgprs: 10
; NumVgprs: 17
; ScratchSize: 0
; MemoryBound: 0
; FloatMode: 240
; IeeeMode: 1
; LDSByteSize: 4224 bytes/workgroup (compile time only)
; SGPRBlocks: 0
; VGPRBlocks: 1
; NumSGPRsForWavesPerEU: 10
; NumVGPRsForWavesPerEU: 17
; NamedBarCnt: 0
; Occupancy: 16
; WaveLimiterHint : 0
; COMPUTE_PGM_RSRC2:SCRATCH_EN: 0
; COMPUTE_PGM_RSRC2:USER_SGPR: 2
; COMPUTE_PGM_RSRC2:TRAP_HANDLER: 0
; COMPUTE_PGM_RSRC2:TGID_X_EN: 1
; COMPUTE_PGM_RSRC2:TGID_Y_EN: 0
; COMPUTE_PGM_RSRC2:TGID_Z_EN: 0
; COMPUTE_PGM_RSRC2:TIDIG_COMP_CNT: 0
	.section	.text._Z25scatter_to_blocked_kernelItjLj300ELj3EEvPT_PT0_Pj,"axG",@progbits,_Z25scatter_to_blocked_kernelItjLj300ELj3EEvPT_PT0_Pj,comdat
	.protected	_Z25scatter_to_blocked_kernelItjLj300ELj3EEvPT_PT0_Pj ; -- Begin function _Z25scatter_to_blocked_kernelItjLj300ELj3EEvPT_PT0_Pj
	.globl	_Z25scatter_to_blocked_kernelItjLj300ELj3EEvPT_PT0_Pj
	.p2align	8
	.type	_Z25scatter_to_blocked_kernelItjLj300ELj3EEvPT_PT0_Pj,@function
_Z25scatter_to_blocked_kernelItjLj300ELj3EEvPT_PT0_Pj: ; @_Z25scatter_to_blocked_kernelItjLj300ELj3EEvPT_PT0_Pj
; %bb.0:
	s_clause 0x1
	s_load_b64 s[2:3], s[0:1], 0x10
	s_load_b128 s[4:7], s[0:1], 0x0
	s_wait_xcnt 0x0
	s_bfe_u32 s0, ttmp6, 0x4000c
	s_and_b32 s1, ttmp6, 15
	s_add_co_i32 s0, s0, 1
	s_getreg_b32 s8, hwreg(HW_REG_IB_STS2, 6, 4)
	s_mul_i32 s0, ttmp9, s0
	v_mul_u32_u24_e32 v3, 3, v0
	s_add_co_i32 s1, s1, s0
	s_cmp_eq_u32 s8, 0
	s_cselect_b32 s0, ttmp9, s1
	s_mov_b32 s1, 0
	s_mulk_i32 s0, 0x12c
	v_dual_lshlrev_b32 v4, 2, v3 :: v_dual_lshlrev_b32 v5, 1, v3
	s_lshl_b64 s[8:9], s[0:1], 2
	s_lshl_b64 s[0:1], s[0:1], 1
	s_wait_kmcnt 0x0
	s_add_nc_u64 s[2:3], s[2:3], s[8:9]
	s_add_nc_u64 s[0:1], s[4:5], s[0:1]
	global_load_b96 v[0:2], v4, s[2:3]
	s_clause 0x1
	global_load_b32 v6, v5, s[0:1]
	global_load_u16 v7, v3, s[0:1] offset:4 scale_offset
	s_wait_xcnt 0x0
	s_add_nc_u64 s[0:1], s[6:7], s[8:9]
	s_wait_loadcnt 0x2
	v_dual_lshlrev_b32 v0, 1, v0 :: v_dual_lshlrev_b32 v1, 1, v1
	v_lshlrev_b32_e32 v2, 1, v2
	s_wait_loadcnt 0x1
	ds_store_b16 v0, v6
	ds_store_b16_d16_hi v1, v6
	s_wait_loadcnt 0x0
	ds_store_b16 v2, v7
	s_wait_dscnt 0x0
	s_barrier_signal -1
	s_barrier_wait -1
	ds_load_b32 v0, v5
	ds_load_u16 v2, v5 offset:4
	s_wait_dscnt 0x1
	v_lshrrev_b32_e32 v1, 16, v0
	v_and_b32_e32 v0, 0xffff, v0
	s_wait_dscnt 0x0
	global_store_b96 v4, v[0:2], s[0:1]
	s_endpgm
	.section	.rodata,"a",@progbits
	.p2align	6, 0x0
	.amdhsa_kernel _Z25scatter_to_blocked_kernelItjLj300ELj3EEvPT_PT0_Pj
		.amdhsa_group_segment_fixed_size 608
		.amdhsa_private_segment_fixed_size 0
		.amdhsa_kernarg_size 24
		.amdhsa_user_sgpr_count 2
		.amdhsa_user_sgpr_dispatch_ptr 0
		.amdhsa_user_sgpr_queue_ptr 0
		.amdhsa_user_sgpr_kernarg_segment_ptr 1
		.amdhsa_user_sgpr_dispatch_id 0
		.amdhsa_user_sgpr_kernarg_preload_length 0
		.amdhsa_user_sgpr_kernarg_preload_offset 0
		.amdhsa_user_sgpr_private_segment_size 0
		.amdhsa_wavefront_size32 1
		.amdhsa_uses_dynamic_stack 0
		.amdhsa_enable_private_segment 0
		.amdhsa_system_sgpr_workgroup_id_x 1
		.amdhsa_system_sgpr_workgroup_id_y 0
		.amdhsa_system_sgpr_workgroup_id_z 0
		.amdhsa_system_sgpr_workgroup_info 0
		.amdhsa_system_vgpr_workitem_id 0
		.amdhsa_next_free_vgpr 8
		.amdhsa_next_free_sgpr 10
		.amdhsa_named_barrier_count 0
		.amdhsa_reserve_vcc 0
		.amdhsa_float_round_mode_32 0
		.amdhsa_float_round_mode_16_64 0
		.amdhsa_float_denorm_mode_32 3
		.amdhsa_float_denorm_mode_16_64 3
		.amdhsa_fp16_overflow 0
		.amdhsa_memory_ordered 1
		.amdhsa_forward_progress 1
		.amdhsa_inst_pref_size 3
		.amdhsa_round_robin_scheduling 0
		.amdhsa_exception_fp_ieee_invalid_op 0
		.amdhsa_exception_fp_denorm_src 0
		.amdhsa_exception_fp_ieee_div_zero 0
		.amdhsa_exception_fp_ieee_overflow 0
		.amdhsa_exception_fp_ieee_underflow 0
		.amdhsa_exception_fp_ieee_inexact 0
		.amdhsa_exception_int_div_zero 0
	.end_amdhsa_kernel
	.section	.text._Z25scatter_to_blocked_kernelItjLj300ELj3EEvPT_PT0_Pj,"axG",@progbits,_Z25scatter_to_blocked_kernelItjLj300ELj3EEvPT_PT0_Pj,comdat
.Lfunc_end77:
	.size	_Z25scatter_to_blocked_kernelItjLj300ELj3EEvPT_PT0_Pj, .Lfunc_end77-_Z25scatter_to_blocked_kernelItjLj300ELj3EEvPT_PT0_Pj
                                        ; -- End function
	.set _Z25scatter_to_blocked_kernelItjLj300ELj3EEvPT_PT0_Pj.num_vgpr, 8
	.set _Z25scatter_to_blocked_kernelItjLj300ELj3EEvPT_PT0_Pj.num_agpr, 0
	.set _Z25scatter_to_blocked_kernelItjLj300ELj3EEvPT_PT0_Pj.numbered_sgpr, 10
	.set _Z25scatter_to_blocked_kernelItjLj300ELj3EEvPT_PT0_Pj.num_named_barrier, 0
	.set _Z25scatter_to_blocked_kernelItjLj300ELj3EEvPT_PT0_Pj.private_seg_size, 0
	.set _Z25scatter_to_blocked_kernelItjLj300ELj3EEvPT_PT0_Pj.uses_vcc, 0
	.set _Z25scatter_to_blocked_kernelItjLj300ELj3EEvPT_PT0_Pj.uses_flat_scratch, 0
	.set _Z25scatter_to_blocked_kernelItjLj300ELj3EEvPT_PT0_Pj.has_dyn_sized_stack, 0
	.set _Z25scatter_to_blocked_kernelItjLj300ELj3EEvPT_PT0_Pj.has_recursion, 0
	.set _Z25scatter_to_blocked_kernelItjLj300ELj3EEvPT_PT0_Pj.has_indirect_call, 0
	.section	.AMDGPU.csdata,"",@progbits
; Kernel info:
; codeLenInByte = 268
; TotalNumSgprs: 10
; NumVgprs: 8
; ScratchSize: 0
; MemoryBound: 0
; FloatMode: 240
; IeeeMode: 1
; LDSByteSize: 608 bytes/workgroup (compile time only)
; SGPRBlocks: 0
; VGPRBlocks: 0
; NumSGPRsForWavesPerEU: 10
; NumVGPRsForWavesPerEU: 8
; NamedBarCnt: 0
; Occupancy: 16
; WaveLimiterHint : 0
; COMPUTE_PGM_RSRC2:SCRATCH_EN: 0
; COMPUTE_PGM_RSRC2:USER_SGPR: 2
; COMPUTE_PGM_RSRC2:TRAP_HANDLER: 0
; COMPUTE_PGM_RSRC2:TGID_X_EN: 1
; COMPUTE_PGM_RSRC2:TGID_Y_EN: 0
; COMPUTE_PGM_RSRC2:TGID_Z_EN: 0
; COMPUTE_PGM_RSRC2:TIDIG_COMP_CNT: 0
	.section	.text._Z25scatter_to_blocked_kernelIc5dummyIdELj928ELj2EEvPT_PT0_Pj,"axG",@progbits,_Z25scatter_to_blocked_kernelIc5dummyIdELj928ELj2EEvPT_PT0_Pj,comdat
	.protected	_Z25scatter_to_blocked_kernelIc5dummyIdELj928ELj2EEvPT_PT0_Pj ; -- Begin function _Z25scatter_to_blocked_kernelIc5dummyIdELj928ELj2EEvPT_PT0_Pj
	.globl	_Z25scatter_to_blocked_kernelIc5dummyIdELj928ELj2EEvPT_PT0_Pj
	.p2align	8
	.type	_Z25scatter_to_blocked_kernelIc5dummyIdELj928ELj2EEvPT_PT0_Pj,@function
_Z25scatter_to_blocked_kernelIc5dummyIdELj928ELj2EEvPT_PT0_Pj: ; @_Z25scatter_to_blocked_kernelIc5dummyIdELj928ELj2EEvPT_PT0_Pj
; %bb.0:
	s_load_b64 s[4:5], s[0:1], 0x10
	s_bfe_u32 s6, ttmp6, 0x4000c
	s_and_b32 s7, ttmp6, 15
	s_add_co_i32 s6, s6, 1
	s_getreg_b32 s8, hwreg(HW_REG_IB_STS2, 6, 4)
	s_mul_i32 s6, ttmp9, s6
	s_wait_xcnt 0x0
	s_load_b128 s[0:3], s[0:1], 0x0
	s_add_co_i32 s7, s7, s6
	s_cmp_eq_u32 s8, 0
	s_cselect_b32 s6, ttmp9, s7
	s_mov_b32 s7, 0
	s_mulk_i32 s6, 0x3a0
	s_delay_alu instid0(SALU_CYCLE_1)
	s_lshl_b64 s[8:9], s[6:7], 2
	s_wait_kmcnt 0x0
	s_add_nc_u64 s[4:5], s[4:5], s[8:9]
	global_load_b64 v[2:3], v0, s[4:5] scale_offset
	s_add_nc_u64 s[0:1], s[0:1], s[6:7]
	global_load_u16 v1, v0, s[0:1] scale_offset
	s_wait_xcnt 0x0
	s_lshl_b64 s[0:1], s[6:7], 4
	s_delay_alu instid0(SALU_CYCLE_1) | instskip(SKIP_2) | instid1(VALU_DEP_1)
	s_add_nc_u64 s[0:1], s[2:3], s[0:1]
	s_wait_loadcnt 0x1
	v_dual_lshrrev_b32 v4, 5, v2 :: v_dual_lshrrev_b32 v5, 5, v3
	v_and_b32_e32 v4, 0x7fffffc, v4
	v_lshrrev_b32_e32 v6, 4, v0
	s_delay_alu instid0(VALU_DEP_3) | instskip(SKIP_3) | instid1(VALU_DEP_3)
	v_and_b32_e32 v5, 0x7fffffc, v5
	s_wait_loadcnt 0x0
	v_lshrrev_b16 v7, 8, v1
	v_add_nc_u32_e32 v2, v4, v2
	v_dual_add_nc_u32 v3, v5, v3 :: v_dual_bitop2_b32 v6, 28, v6 bitop3:0x40
	ds_store_b8 v2, v1
	ds_store_b8 v3, v7
	v_lshl_add_u32 v4, v0, 1, v6
	s_wait_dscnt 0x0
	s_barrier_signal -1
	s_barrier_wait -1
	ds_load_u16 v1, v4
	v_lshlrev_b32_e32 v0, 5, v0
	s_wait_dscnt 0x0
	v_lshrrev_b16 v2, 8, v1
	v_bfe_i32 v1, v1, 0, 8
	s_delay_alu instid0(VALU_DEP_2) | instskip(NEXT) | instid1(VALU_DEP_2)
	v_bfe_i32 v2, v2, 0, 8
	v_dual_add_nc_u32 v3, 1, v1 :: v_dual_lshlrev_b32 v1, 1, v1
	s_delay_alu instid0(VALU_DEP_2) | instskip(NEXT) | instid1(VALU_DEP_2)
	v_dual_add_nc_u32 v6, 1, v2 :: v_dual_lshlrev_b32 v8, 1, v2
	v_cvt_f64_i32_e32 v[2:3], v3
	s_delay_alu instid0(VALU_DEP_3) | instskip(NEXT) | instid1(VALU_DEP_3)
	v_cvt_f64_i32_e32 v[4:5], v1
	v_cvt_f64_i32_e32 v[6:7], v6
	s_delay_alu instid0(VALU_DEP_4)
	v_cvt_f64_i32_e32 v[8:9], v8
	s_clause 0x1
	global_store_b128 v0, v[2:5], s[0:1]
	global_store_b128 v0, v[6:9], s[0:1] offset:16
	s_endpgm
	.section	.rodata,"a",@progbits
	.p2align	6, 0x0
	.amdhsa_kernel _Z25scatter_to_blocked_kernelIc5dummyIdELj928ELj2EEvPT_PT0_Pj
		.amdhsa_group_segment_fixed_size 960
		.amdhsa_private_segment_fixed_size 0
		.amdhsa_kernarg_size 24
		.amdhsa_user_sgpr_count 2
		.amdhsa_user_sgpr_dispatch_ptr 0
		.amdhsa_user_sgpr_queue_ptr 0
		.amdhsa_user_sgpr_kernarg_segment_ptr 1
		.amdhsa_user_sgpr_dispatch_id 0
		.amdhsa_user_sgpr_kernarg_preload_length 0
		.amdhsa_user_sgpr_kernarg_preload_offset 0
		.amdhsa_user_sgpr_private_segment_size 0
		.amdhsa_wavefront_size32 1
		.amdhsa_uses_dynamic_stack 0
		.amdhsa_enable_private_segment 0
		.amdhsa_system_sgpr_workgroup_id_x 1
		.amdhsa_system_sgpr_workgroup_id_y 0
		.amdhsa_system_sgpr_workgroup_id_z 0
		.amdhsa_system_sgpr_workgroup_info 0
		.amdhsa_system_vgpr_workitem_id 0
		.amdhsa_next_free_vgpr 10
		.amdhsa_next_free_sgpr 10
		.amdhsa_named_barrier_count 0
		.amdhsa_reserve_vcc 0
		.amdhsa_float_round_mode_32 0
		.amdhsa_float_round_mode_16_64 0
		.amdhsa_float_denorm_mode_32 3
		.amdhsa_float_denorm_mode_16_64 3
		.amdhsa_fp16_overflow 0
		.amdhsa_memory_ordered 1
		.amdhsa_forward_progress 1
		.amdhsa_inst_pref_size 3
		.amdhsa_round_robin_scheduling 0
		.amdhsa_exception_fp_ieee_invalid_op 0
		.amdhsa_exception_fp_denorm_src 0
		.amdhsa_exception_fp_ieee_div_zero 0
		.amdhsa_exception_fp_ieee_overflow 0
		.amdhsa_exception_fp_ieee_underflow 0
		.amdhsa_exception_fp_ieee_inexact 0
		.amdhsa_exception_int_div_zero 0
	.end_amdhsa_kernel
	.section	.text._Z25scatter_to_blocked_kernelIc5dummyIdELj928ELj2EEvPT_PT0_Pj,"axG",@progbits,_Z25scatter_to_blocked_kernelIc5dummyIdELj928ELj2EEvPT_PT0_Pj,comdat
.Lfunc_end78:
	.size	_Z25scatter_to_blocked_kernelIc5dummyIdELj928ELj2EEvPT_PT0_Pj, .Lfunc_end78-_Z25scatter_to_blocked_kernelIc5dummyIdELj928ELj2EEvPT_PT0_Pj
                                        ; -- End function
	.set _Z25scatter_to_blocked_kernelIc5dummyIdELj928ELj2EEvPT_PT0_Pj.num_vgpr, 10
	.set _Z25scatter_to_blocked_kernelIc5dummyIdELj928ELj2EEvPT_PT0_Pj.num_agpr, 0
	.set _Z25scatter_to_blocked_kernelIc5dummyIdELj928ELj2EEvPT_PT0_Pj.numbered_sgpr, 10
	.set _Z25scatter_to_blocked_kernelIc5dummyIdELj928ELj2EEvPT_PT0_Pj.num_named_barrier, 0
	.set _Z25scatter_to_blocked_kernelIc5dummyIdELj928ELj2EEvPT_PT0_Pj.private_seg_size, 0
	.set _Z25scatter_to_blocked_kernelIc5dummyIdELj928ELj2EEvPT_PT0_Pj.uses_vcc, 0
	.set _Z25scatter_to_blocked_kernelIc5dummyIdELj928ELj2EEvPT_PT0_Pj.uses_flat_scratch, 0
	.set _Z25scatter_to_blocked_kernelIc5dummyIdELj928ELj2EEvPT_PT0_Pj.has_dyn_sized_stack, 0
	.set _Z25scatter_to_blocked_kernelIc5dummyIdELj928ELj2EEvPT_PT0_Pj.has_recursion, 0
	.set _Z25scatter_to_blocked_kernelIc5dummyIdELj928ELj2EEvPT_PT0_Pj.has_indirect_call, 0
	.section	.AMDGPU.csdata,"",@progbits
; Kernel info:
; codeLenInByte = 356
; TotalNumSgprs: 10
; NumVgprs: 10
; ScratchSize: 0
; MemoryBound: 0
; FloatMode: 240
; IeeeMode: 1
; LDSByteSize: 960 bytes/workgroup (compile time only)
; SGPRBlocks: 0
; VGPRBlocks: 0
; NumSGPRsForWavesPerEU: 10
; NumVGPRsForWavesPerEU: 10
; NamedBarCnt: 0
; Occupancy: 16
; WaveLimiterHint : 0
; COMPUTE_PGM_RSRC2:SCRATCH_EN: 0
; COMPUTE_PGM_RSRC2:USER_SGPR: 2
; COMPUTE_PGM_RSRC2:TRAP_HANDLER: 0
; COMPUTE_PGM_RSRC2:TGID_X_EN: 1
; COMPUTE_PGM_RSRC2:TGID_Y_EN: 0
; COMPUTE_PGM_RSRC2:TGID_Z_EN: 0
; COMPUTE_PGM_RSRC2:TIDIG_COMP_CNT: 0
	.section	.text._Z25scatter_to_blocked_kernelIfiLj165ELj5EEvPT_PT0_Pj,"axG",@progbits,_Z25scatter_to_blocked_kernelIfiLj165ELj5EEvPT_PT0_Pj,comdat
	.protected	_Z25scatter_to_blocked_kernelIfiLj165ELj5EEvPT_PT0_Pj ; -- Begin function _Z25scatter_to_blocked_kernelIfiLj165ELj5EEvPT_PT0_Pj
	.globl	_Z25scatter_to_blocked_kernelIfiLj165ELj5EEvPT_PT0_Pj
	.p2align	8
	.type	_Z25scatter_to_blocked_kernelIfiLj165ELj5EEvPT_PT0_Pj,@function
_Z25scatter_to_blocked_kernelIfiLj165ELj5EEvPT_PT0_Pj: ; @_Z25scatter_to_blocked_kernelIfiLj165ELj5EEvPT_PT0_Pj
; %bb.0:
	s_clause 0x1
	s_load_b64 s[2:3], s[0:1], 0x10
	s_load_b128 s[4:7], s[0:1], 0x0
	s_wait_xcnt 0x0
	s_bfe_u32 s0, ttmp6, 0x4000c
	s_and_b32 s1, ttmp6, 15
	s_add_co_i32 s0, s0, 1
	s_getreg_b32 s8, hwreg(HW_REG_IB_STS2, 6, 4)
	s_mul_i32 s0, ttmp9, s0
	v_mul_u32_u24_e32 v8, 5, v0
	s_add_co_i32 s1, s1, s0
	s_cmp_eq_u32 s8, 0
	s_cselect_b32 s0, ttmp9, s1
	s_mov_b32 s1, 0
	s_mulk_i32 s0, 0xa5
	v_lshlrev_b32_e32 v9, 2, v8
	s_lshl_b64 s[0:1], s[0:1], 2
	s_wait_kmcnt 0x0
	s_add_nc_u64 s[2:3], s[2:3], s[0:1]
	s_add_nc_u64 s[4:5], s[4:5], s[0:1]
	global_load_b128 v[0:3], v9, s[2:3]
	s_add_nc_u64 s[0:1], s[6:7], s[0:1]
	s_wait_loadcnt 0x0
	v_lshlrev_b32_e32 v1, 2, v1
	global_load_b32 v10, v8, s[2:3] offset:16 scale_offset
	s_clause 0x1
	global_load_b128 v[4:7], v9, s[4:5]
	global_load_b32 v11, v8, s[4:5] offset:16 scale_offset
	v_dual_lshlrev_b32 v0, 2, v0 :: v_dual_lshlrev_b32 v2, 2, v2
	s_wait_loadcnt 0x2
	v_dual_lshlrev_b32 v3, 2, v3 :: v_dual_lshlrev_b32 v10, 2, v10
	s_wait_loadcnt 0x1
	ds_store_b32 v0, v4
	ds_store_b32 v1, v5
	;; [unrolled: 1-line block ×4, first 2 shown]
	s_wait_loadcnt 0x0
	ds_store_b32 v10, v11
	s_wait_dscnt 0x0
	s_barrier_signal -1
	s_barrier_wait -1
	ds_load_2addr_b32 v[0:1], v9 offset1:1
	ds_load_2addr_b32 v[2:3], v9 offset0:2 offset1:3
	ds_load_b32 v4, v9 offset:16
	s_wait_dscnt 0x2
	v_cvt_i32_f32_e32 v1, v1
	v_cvt_i32_f32_e32 v0, v0
	s_wait_dscnt 0x1
	v_cvt_i32_f32_e32 v3, v3
	v_cvt_i32_f32_e32 v2, v2
	s_wait_dscnt 0x0
	v_cvt_i32_f32_e32 v4, v4
	s_clause 0x1
	global_store_b128 v9, v[0:3], s[0:1]
	global_store_b32 v8, v4, s[0:1] offset:16 scale_offset
	s_endpgm
	.section	.rodata,"a",@progbits
	.p2align	6, 0x0
	.amdhsa_kernel _Z25scatter_to_blocked_kernelIfiLj165ELj5EEvPT_PT0_Pj
		.amdhsa_group_segment_fixed_size 672
		.amdhsa_private_segment_fixed_size 0
		.amdhsa_kernarg_size 24
		.amdhsa_user_sgpr_count 2
		.amdhsa_user_sgpr_dispatch_ptr 0
		.amdhsa_user_sgpr_queue_ptr 0
		.amdhsa_user_sgpr_kernarg_segment_ptr 1
		.amdhsa_user_sgpr_dispatch_id 0
		.amdhsa_user_sgpr_kernarg_preload_length 0
		.amdhsa_user_sgpr_kernarg_preload_offset 0
		.amdhsa_user_sgpr_private_segment_size 0
		.amdhsa_wavefront_size32 1
		.amdhsa_uses_dynamic_stack 0
		.amdhsa_enable_private_segment 0
		.amdhsa_system_sgpr_workgroup_id_x 1
		.amdhsa_system_sgpr_workgroup_id_y 0
		.amdhsa_system_sgpr_workgroup_id_z 0
		.amdhsa_system_sgpr_workgroup_info 0
		.amdhsa_system_vgpr_workitem_id 0
		.amdhsa_next_free_vgpr 12
		.amdhsa_next_free_sgpr 9
		.amdhsa_named_barrier_count 0
		.amdhsa_reserve_vcc 0
		.amdhsa_float_round_mode_32 0
		.amdhsa_float_round_mode_16_64 0
		.amdhsa_float_denorm_mode_32 3
		.amdhsa_float_denorm_mode_16_64 3
		.amdhsa_fp16_overflow 0
		.amdhsa_memory_ordered 1
		.amdhsa_forward_progress 1
		.amdhsa_inst_pref_size 3
		.amdhsa_round_robin_scheduling 0
		.amdhsa_exception_fp_ieee_invalid_op 0
		.amdhsa_exception_fp_denorm_src 0
		.amdhsa_exception_fp_ieee_div_zero 0
		.amdhsa_exception_fp_ieee_overflow 0
		.amdhsa_exception_fp_ieee_underflow 0
		.amdhsa_exception_fp_ieee_inexact 0
		.amdhsa_exception_int_div_zero 0
	.end_amdhsa_kernel
	.section	.text._Z25scatter_to_blocked_kernelIfiLj165ELj5EEvPT_PT0_Pj,"axG",@progbits,_Z25scatter_to_blocked_kernelIfiLj165ELj5EEvPT_PT0_Pj,comdat
.Lfunc_end79:
	.size	_Z25scatter_to_blocked_kernelIfiLj165ELj5EEvPT_PT0_Pj, .Lfunc_end79-_Z25scatter_to_blocked_kernelIfiLj165ELj5EEvPT_PT0_Pj
                                        ; -- End function
	.set _Z25scatter_to_blocked_kernelIfiLj165ELj5EEvPT_PT0_Pj.num_vgpr, 12
	.set _Z25scatter_to_blocked_kernelIfiLj165ELj5EEvPT_PT0_Pj.num_agpr, 0
	.set _Z25scatter_to_blocked_kernelIfiLj165ELj5EEvPT_PT0_Pj.numbered_sgpr, 9
	.set _Z25scatter_to_blocked_kernelIfiLj165ELj5EEvPT_PT0_Pj.num_named_barrier, 0
	.set _Z25scatter_to_blocked_kernelIfiLj165ELj5EEvPT_PT0_Pj.private_seg_size, 0
	.set _Z25scatter_to_blocked_kernelIfiLj165ELj5EEvPT_PT0_Pj.uses_vcc, 0
	.set _Z25scatter_to_blocked_kernelIfiLj165ELj5EEvPT_PT0_Pj.uses_flat_scratch, 0
	.set _Z25scatter_to_blocked_kernelIfiLj165ELj5EEvPT_PT0_Pj.has_dyn_sized_stack, 0
	.set _Z25scatter_to_blocked_kernelIfiLj165ELj5EEvPT_PT0_Pj.has_recursion, 0
	.set _Z25scatter_to_blocked_kernelIfiLj165ELj5EEvPT_PT0_Pj.has_indirect_call, 0
	.section	.AMDGPU.csdata,"",@progbits
; Kernel info:
; codeLenInByte = 332
; TotalNumSgprs: 9
; NumVgprs: 12
; ScratchSize: 0
; MemoryBound: 0
; FloatMode: 240
; IeeeMode: 1
; LDSByteSize: 672 bytes/workgroup (compile time only)
; SGPRBlocks: 0
; VGPRBlocks: 0
; NumSGPRsForWavesPerEU: 9
; NumVGPRsForWavesPerEU: 12
; NamedBarCnt: 0
; Occupancy: 16
; WaveLimiterHint : 0
; COMPUTE_PGM_RSRC2:SCRATCH_EN: 0
; COMPUTE_PGM_RSRC2:USER_SGPR: 2
; COMPUTE_PGM_RSRC2:TRAP_HANDLER: 0
; COMPUTE_PGM_RSRC2:TGID_X_EN: 1
; COMPUTE_PGM_RSRC2:TGID_Y_EN: 0
; COMPUTE_PGM_RSRC2:TGID_Z_EN: 0
; COMPUTE_PGM_RSRC2:TIDIG_COMP_CNT: 0
	.section	.text._Z25scatter_to_blocked_kernelIidLj165ELj5EEvPT_PT0_Pj,"axG",@progbits,_Z25scatter_to_blocked_kernelIidLj165ELj5EEvPT_PT0_Pj,comdat
	.protected	_Z25scatter_to_blocked_kernelIidLj165ELj5EEvPT_PT0_Pj ; -- Begin function _Z25scatter_to_blocked_kernelIidLj165ELj5EEvPT_PT0_Pj
	.globl	_Z25scatter_to_blocked_kernelIidLj165ELj5EEvPT_PT0_Pj
	.p2align	8
	.type	_Z25scatter_to_blocked_kernelIidLj165ELj5EEvPT_PT0_Pj,@function
_Z25scatter_to_blocked_kernelIidLj165ELj5EEvPT_PT0_Pj: ; @_Z25scatter_to_blocked_kernelIidLj165ELj5EEvPT_PT0_Pj
; %bb.0:
	s_clause 0x1
	s_load_b64 s[2:3], s[0:1], 0x10
	s_load_b128 s[4:7], s[0:1], 0x0
	s_wait_xcnt 0x0
	s_bfe_u32 s0, ttmp6, 0x4000c
	s_and_b32 s1, ttmp6, 15
	s_add_co_i32 s0, s0, 1
	s_getreg_b32 s8, hwreg(HW_REG_IB_STS2, 6, 4)
	s_mul_i32 s0, ttmp9, s0
	v_mul_u32_u24_e32 v10, 5, v0
	s_add_co_i32 s1, s1, s0
	s_cmp_eq_u32 s8, 0
	s_cselect_b32 s0, ttmp9, s1
	s_mov_b32 s1, 0
	s_mulk_i32 s0, 0xa5
	v_lshlrev_b32_e32 v8, 2, v10
	s_lshl_b64 s[8:9], s[0:1], 2
	s_lshl_b64 s[0:1], s[0:1], 3
	s_wait_kmcnt 0x0
	s_add_nc_u64 s[2:3], s[2:3], s[8:9]
	s_add_nc_u64 s[4:5], s[4:5], s[8:9]
	global_load_b128 v[0:3], v8, s[2:3]
	s_add_nc_u64 s[0:1], s[6:7], s[0:1]
	s_wait_loadcnt 0x0
	v_lshlrev_b32_e32 v0, 2, v0
	global_load_b32 v9, v10, s[2:3] offset:16 scale_offset
	s_clause 0x1
	global_load_b128 v[4:7], v8, s[4:5]
	global_load_b32 v11, v10, s[4:5] offset:16 scale_offset
	v_dual_lshlrev_b32 v1, 2, v1 :: v_dual_lshlrev_b32 v2, 2, v2
	s_wait_loadcnt 0x2
	v_dual_lshlrev_b32 v3, 2, v3 :: v_dual_lshlrev_b32 v9, 2, v9
	s_wait_loadcnt 0x1
	ds_store_b32 v0, v4
	ds_store_b32 v1, v5
	;; [unrolled: 1-line block ×4, first 2 shown]
	s_wait_loadcnt 0x0
	ds_store_b32 v9, v11
	s_wait_dscnt 0x0
	s_barrier_signal -1
	s_barrier_wait -1
	ds_load_2addr_b32 v[2:3], v8 offset1:1
	ds_load_2addr_b32 v[6:7], v8 offset0:2 offset1:3
	ds_load_b32 v8, v8 offset:16
	v_lshlrev_b32_e32 v11, 3, v10
	s_wait_dscnt 0x2
	v_cvt_f64_i32_e32 v[0:1], v2
	s_wait_dscnt 0x1
	v_cvt_f64_i32_e32 v[4:5], v6
	v_cvt_f64_i32_e32 v[6:7], v7
	;; [unrolled: 1-line block ×3, first 2 shown]
	s_wait_dscnt 0x0
	v_cvt_f64_i32_e32 v[8:9], v8
	s_clause 0x2
	global_store_b128 v11, v[4:7], s[0:1] offset:16
	global_store_b128 v11, v[0:3], s[0:1]
	global_store_b64 v10, v[8:9], s[0:1] offset:32 scale_offset
	s_endpgm
	.section	.rodata,"a",@progbits
	.p2align	6, 0x0
	.amdhsa_kernel _Z25scatter_to_blocked_kernelIidLj165ELj5EEvPT_PT0_Pj
		.amdhsa_group_segment_fixed_size 672
		.amdhsa_private_segment_fixed_size 0
		.amdhsa_kernarg_size 24
		.amdhsa_user_sgpr_count 2
		.amdhsa_user_sgpr_dispatch_ptr 0
		.amdhsa_user_sgpr_queue_ptr 0
		.amdhsa_user_sgpr_kernarg_segment_ptr 1
		.amdhsa_user_sgpr_dispatch_id 0
		.amdhsa_user_sgpr_kernarg_preload_length 0
		.amdhsa_user_sgpr_kernarg_preload_offset 0
		.amdhsa_user_sgpr_private_segment_size 0
		.amdhsa_wavefront_size32 1
		.amdhsa_uses_dynamic_stack 0
		.amdhsa_enable_private_segment 0
		.amdhsa_system_sgpr_workgroup_id_x 1
		.amdhsa_system_sgpr_workgroup_id_y 0
		.amdhsa_system_sgpr_workgroup_id_z 0
		.amdhsa_system_sgpr_workgroup_info 0
		.amdhsa_system_vgpr_workitem_id 0
		.amdhsa_next_free_vgpr 12
		.amdhsa_next_free_sgpr 10
		.amdhsa_named_barrier_count 0
		.amdhsa_reserve_vcc 0
		.amdhsa_float_round_mode_32 0
		.amdhsa_float_round_mode_16_64 0
		.amdhsa_float_denorm_mode_32 3
		.amdhsa_float_denorm_mode_16_64 3
		.amdhsa_fp16_overflow 0
		.amdhsa_memory_ordered 1
		.amdhsa_forward_progress 1
		.amdhsa_inst_pref_size 3
		.amdhsa_round_robin_scheduling 0
		.amdhsa_exception_fp_ieee_invalid_op 0
		.amdhsa_exception_fp_denorm_src 0
		.amdhsa_exception_fp_ieee_div_zero 0
		.amdhsa_exception_fp_ieee_overflow 0
		.amdhsa_exception_fp_ieee_underflow 0
		.amdhsa_exception_fp_ieee_inexact 0
		.amdhsa_exception_int_div_zero 0
	.end_amdhsa_kernel
	.section	.text._Z25scatter_to_blocked_kernelIidLj165ELj5EEvPT_PT0_Pj,"axG",@progbits,_Z25scatter_to_blocked_kernelIidLj165ELj5EEvPT_PT0_Pj,comdat
.Lfunc_end80:
	.size	_Z25scatter_to_blocked_kernelIidLj165ELj5EEvPT_PT0_Pj, .Lfunc_end80-_Z25scatter_to_blocked_kernelIidLj165ELj5EEvPT_PT0_Pj
                                        ; -- End function
	.set _Z25scatter_to_blocked_kernelIidLj165ELj5EEvPT_PT0_Pj.num_vgpr, 12
	.set _Z25scatter_to_blocked_kernelIidLj165ELj5EEvPT_PT0_Pj.num_agpr, 0
	.set _Z25scatter_to_blocked_kernelIidLj165ELj5EEvPT_PT0_Pj.numbered_sgpr, 10
	.set _Z25scatter_to_blocked_kernelIidLj165ELj5EEvPT_PT0_Pj.num_named_barrier, 0
	.set _Z25scatter_to_blocked_kernelIidLj165ELj5EEvPT_PT0_Pj.private_seg_size, 0
	.set _Z25scatter_to_blocked_kernelIidLj165ELj5EEvPT_PT0_Pj.uses_vcc, 0
	.set _Z25scatter_to_blocked_kernelIidLj165ELj5EEvPT_PT0_Pj.uses_flat_scratch, 0
	.set _Z25scatter_to_blocked_kernelIidLj165ELj5EEvPT_PT0_Pj.has_dyn_sized_stack, 0
	.set _Z25scatter_to_blocked_kernelIidLj165ELj5EEvPT_PT0_Pj.has_recursion, 0
	.set _Z25scatter_to_blocked_kernelIidLj165ELj5EEvPT_PT0_Pj.has_indirect_call, 0
	.section	.AMDGPU.csdata,"",@progbits
; Kernel info:
; codeLenInByte = 352
; TotalNumSgprs: 10
; NumVgprs: 12
; ScratchSize: 0
; MemoryBound: 0
; FloatMode: 240
; IeeeMode: 1
; LDSByteSize: 672 bytes/workgroup (compile time only)
; SGPRBlocks: 0
; VGPRBlocks: 0
; NumSGPRsForWavesPerEU: 10
; NumVGPRsForWavesPerEU: 12
; NamedBarCnt: 0
; Occupancy: 16
; WaveLimiterHint : 0
; COMPUTE_PGM_RSRC2:SCRATCH_EN: 0
; COMPUTE_PGM_RSRC2:USER_SGPR: 2
; COMPUTE_PGM_RSRC2:TRAP_HANDLER: 0
; COMPUTE_PGM_RSRC2:TGID_X_EN: 1
; COMPUTE_PGM_RSRC2:TGID_Y_EN: 0
; COMPUTE_PGM_RSRC2:TGID_Z_EN: 0
; COMPUTE_PGM_RSRC2:TIDIG_COMP_CNT: 0
	.section	.text._Z25scatter_to_blocked_kernelIyyLj192ELj3EEvPT_PT0_Pj,"axG",@progbits,_Z25scatter_to_blocked_kernelIyyLj192ELj3EEvPT_PT0_Pj,comdat
	.protected	_Z25scatter_to_blocked_kernelIyyLj192ELj3EEvPT_PT0_Pj ; -- Begin function _Z25scatter_to_blocked_kernelIyyLj192ELj3EEvPT_PT0_Pj
	.globl	_Z25scatter_to_blocked_kernelIyyLj192ELj3EEvPT_PT0_Pj
	.p2align	8
	.type	_Z25scatter_to_blocked_kernelIyyLj192ELj3EEvPT_PT0_Pj,@function
_Z25scatter_to_blocked_kernelIyyLj192ELj3EEvPT_PT0_Pj: ; @_Z25scatter_to_blocked_kernelIyyLj192ELj3EEvPT_PT0_Pj
; %bb.0:
	s_clause 0x1
	s_load_b64 s[2:3], s[0:1], 0x10
	s_load_b128 s[4:7], s[0:1], 0x0
	s_wait_xcnt 0x0
	s_bfe_u32 s0, ttmp6, 0x4000c
	s_and_b32 s1, ttmp6, 15
	s_add_co_i32 s0, s0, 1
	s_getreg_b32 s8, hwreg(HW_REG_IB_STS2, 6, 4)
	s_mul_i32 s0, ttmp9, s0
	v_mul_u32_u24_e32 v7, 3, v0
	s_add_co_i32 s1, s1, s0
	s_cmp_eq_u32 s8, 0
	s_cselect_b32 s0, ttmp9, s1
	s_mov_b32 s1, 0
	s_mulk_i32 s0, 0xc0
	v_dual_lshlrev_b32 v0, 2, v7 :: v_dual_lshlrev_b32 v10, 3, v7
	s_lshl_b64 s[8:9], s[0:1], 2
	s_lshl_b64 s[0:1], s[0:1], 3
	s_wait_kmcnt 0x0
	s_add_nc_u64 s[2:3], s[2:3], s[8:9]
	global_load_b96 v[4:6], v0, s[2:3]
	s_wait_xcnt 0x0
	s_add_nc_u64 s[2:3], s[4:5], s[0:1]
	s_clause 0x1
	global_load_b128 v[0:3], v10, s[2:3]
	global_load_b64 v[8:9], v7, s[2:3] offset:16 scale_offset
	s_add_nc_u64 s[0:1], s[6:7], s[0:1]
	s_wait_loadcnt 0x2
	v_dual_lshlrev_b32 v4, 3, v4 :: v_dual_lshlrev_b32 v5, 3, v5
	v_lshlrev_b32_e32 v6, 3, v6
	s_wait_loadcnt 0x1
	ds_store_b64 v4, v[0:1]
	ds_store_b64 v5, v[2:3]
	s_wait_loadcnt 0x0
	ds_store_b64 v6, v[8:9]
	s_wait_dscnt 0x0
	s_barrier_signal -1
	s_barrier_wait -1
	ds_load_2addr_b64 v[0:3], v10 offset1:1
	ds_load_b64 v[4:5], v10 offset:16
	s_wait_dscnt 0x1
	global_store_b128 v10, v[0:3], s[0:1]
	s_wait_dscnt 0x0
	global_store_b64 v7, v[4:5], s[0:1] offset:16 scale_offset
	s_endpgm
	.section	.rodata,"a",@progbits
	.p2align	6, 0x0
	.amdhsa_kernel _Z25scatter_to_blocked_kernelIyyLj192ELj3EEvPT_PT0_Pj
		.amdhsa_group_segment_fixed_size 1536
		.amdhsa_private_segment_fixed_size 0
		.amdhsa_kernarg_size 24
		.amdhsa_user_sgpr_count 2
		.amdhsa_user_sgpr_dispatch_ptr 0
		.amdhsa_user_sgpr_queue_ptr 0
		.amdhsa_user_sgpr_kernarg_segment_ptr 1
		.amdhsa_user_sgpr_dispatch_id 0
		.amdhsa_user_sgpr_kernarg_preload_length 0
		.amdhsa_user_sgpr_kernarg_preload_offset 0
		.amdhsa_user_sgpr_private_segment_size 0
		.amdhsa_wavefront_size32 1
		.amdhsa_uses_dynamic_stack 0
		.amdhsa_enable_private_segment 0
		.amdhsa_system_sgpr_workgroup_id_x 1
		.amdhsa_system_sgpr_workgroup_id_y 0
		.amdhsa_system_sgpr_workgroup_id_z 0
		.amdhsa_system_sgpr_workgroup_info 0
		.amdhsa_system_vgpr_workitem_id 0
		.amdhsa_next_free_vgpr 11
		.amdhsa_next_free_sgpr 10
		.amdhsa_named_barrier_count 0
		.amdhsa_reserve_vcc 0
		.amdhsa_float_round_mode_32 0
		.amdhsa_float_round_mode_16_64 0
		.amdhsa_float_denorm_mode_32 3
		.amdhsa_float_denorm_mode_16_64 3
		.amdhsa_fp16_overflow 0
		.amdhsa_memory_ordered 1
		.amdhsa_forward_progress 1
		.amdhsa_inst_pref_size 3
		.amdhsa_round_robin_scheduling 0
		.amdhsa_exception_fp_ieee_invalid_op 0
		.amdhsa_exception_fp_denorm_src 0
		.amdhsa_exception_fp_ieee_div_zero 0
		.amdhsa_exception_fp_ieee_overflow 0
		.amdhsa_exception_fp_ieee_underflow 0
		.amdhsa_exception_fp_ieee_inexact 0
		.amdhsa_exception_int_div_zero 0
	.end_amdhsa_kernel
	.section	.text._Z25scatter_to_blocked_kernelIyyLj192ELj3EEvPT_PT0_Pj,"axG",@progbits,_Z25scatter_to_blocked_kernelIyyLj192ELj3EEvPT_PT0_Pj,comdat
.Lfunc_end81:
	.size	_Z25scatter_to_blocked_kernelIyyLj192ELj3EEvPT_PT0_Pj, .Lfunc_end81-_Z25scatter_to_blocked_kernelIyyLj192ELj3EEvPT_PT0_Pj
                                        ; -- End function
	.set _Z25scatter_to_blocked_kernelIyyLj192ELj3EEvPT_PT0_Pj.num_vgpr, 11
	.set _Z25scatter_to_blocked_kernelIyyLj192ELj3EEvPT_PT0_Pj.num_agpr, 0
	.set _Z25scatter_to_blocked_kernelIyyLj192ELj3EEvPT_PT0_Pj.numbered_sgpr, 10
	.set _Z25scatter_to_blocked_kernelIyyLj192ELj3EEvPT_PT0_Pj.num_named_barrier, 0
	.set _Z25scatter_to_blocked_kernelIyyLj192ELj3EEvPT_PT0_Pj.private_seg_size, 0
	.set _Z25scatter_to_blocked_kernelIyyLj192ELj3EEvPT_PT0_Pj.uses_vcc, 0
	.set _Z25scatter_to_blocked_kernelIyyLj192ELj3EEvPT_PT0_Pj.uses_flat_scratch, 0
	.set _Z25scatter_to_blocked_kernelIyyLj192ELj3EEvPT_PT0_Pj.has_dyn_sized_stack, 0
	.set _Z25scatter_to_blocked_kernelIyyLj192ELj3EEvPT_PT0_Pj.has_recursion, 0
	.set _Z25scatter_to_blocked_kernelIyyLj192ELj3EEvPT_PT0_Pj.has_indirect_call, 0
	.section	.AMDGPU.csdata,"",@progbits
; Kernel info:
; codeLenInByte = 268
; TotalNumSgprs: 10
; NumVgprs: 11
; ScratchSize: 0
; MemoryBound: 1
; FloatMode: 240
; IeeeMode: 1
; LDSByteSize: 1536 bytes/workgroup (compile time only)
; SGPRBlocks: 0
; VGPRBlocks: 0
; NumSGPRsForWavesPerEU: 10
; NumVGPRsForWavesPerEU: 11
; NamedBarCnt: 0
; Occupancy: 16
; WaveLimiterHint : 1
; COMPUTE_PGM_RSRC2:SCRATCH_EN: 0
; COMPUTE_PGM_RSRC2:USER_SGPR: 2
; COMPUTE_PGM_RSRC2:TRAP_HANDLER: 0
; COMPUTE_PGM_RSRC2:TGID_X_EN: 1
; COMPUTE_PGM_RSRC2:TGID_Y_EN: 0
; COMPUTE_PGM_RSRC2:TGID_Z_EN: 0
; COMPUTE_PGM_RSRC2:TIDIG_COMP_CNT: 0
	.section	.text._Z25scatter_to_blocked_kernelIiiLj384ELj3EEvPT_PT0_Pj,"axG",@progbits,_Z25scatter_to_blocked_kernelIiiLj384ELj3EEvPT_PT0_Pj,comdat
	.protected	_Z25scatter_to_blocked_kernelIiiLj384ELj3EEvPT_PT0_Pj ; -- Begin function _Z25scatter_to_blocked_kernelIiiLj384ELj3EEvPT_PT0_Pj
	.globl	_Z25scatter_to_blocked_kernelIiiLj384ELj3EEvPT_PT0_Pj
	.p2align	8
	.type	_Z25scatter_to_blocked_kernelIiiLj384ELj3EEvPT_PT0_Pj,@function
_Z25scatter_to_blocked_kernelIiiLj384ELj3EEvPT_PT0_Pj: ; @_Z25scatter_to_blocked_kernelIiiLj384ELj3EEvPT_PT0_Pj
; %bb.0:
	s_clause 0x1
	s_load_b64 s[2:3], s[0:1], 0x10
	s_load_b128 s[4:7], s[0:1], 0x0
	s_wait_xcnt 0x0
	s_bfe_u32 s0, ttmp6, 0x4000c
	s_and_b32 s1, ttmp6, 15
	s_add_co_i32 s0, s0, 1
	s_getreg_b32 s8, hwreg(HW_REG_IB_STS2, 6, 4)
	s_mul_i32 s0, ttmp9, s0
	v_mul_u32_u24_e32 v0, 3, v0
	s_add_co_i32 s1, s1, s0
	s_cmp_eq_u32 s8, 0
	s_cselect_b32 s0, ttmp9, s1
	s_mov_b32 s1, 0
	s_mulk_i32 s0, 0x180
	v_lshlrev_b32_e32 v3, 2, v0
	s_lshl_b64 s[0:1], s[0:1], 2
	s_wait_kmcnt 0x0
	s_add_nc_u64 s[2:3], s[2:3], s[0:1]
	global_load_b96 v[0:2], v3, s[2:3]
	s_wait_xcnt 0x0
	s_add_nc_u64 s[2:3], s[4:5], s[0:1]
	s_add_nc_u64 s[0:1], s[6:7], s[0:1]
	s_wait_loadcnt 0x0
	v_lshlrev_b32_e32 v0, 2, v0
	global_load_b96 v[4:6], v3, s[2:3]
	v_dual_lshlrev_b32 v1, 2, v1 :: v_dual_lshlrev_b32 v2, 2, v2
	s_wait_loadcnt 0x0
	ds_store_b32 v0, v4
	ds_store_b32 v1, v5
	;; [unrolled: 1-line block ×3, first 2 shown]
	s_wait_dscnt 0x0
	s_barrier_signal -1
	s_barrier_wait -1
	ds_load_b32 v2, v3 offset:8
	ds_load_2addr_b32 v[0:1], v3 offset1:1
	s_wait_dscnt 0x0
	global_store_b96 v3, v[0:2], s[0:1]
	s_endpgm
	.section	.rodata,"a",@progbits
	.p2align	6, 0x0
	.amdhsa_kernel _Z25scatter_to_blocked_kernelIiiLj384ELj3EEvPT_PT0_Pj
		.amdhsa_group_segment_fixed_size 1536
		.amdhsa_private_segment_fixed_size 0
		.amdhsa_kernarg_size 24
		.amdhsa_user_sgpr_count 2
		.amdhsa_user_sgpr_dispatch_ptr 0
		.amdhsa_user_sgpr_queue_ptr 0
		.amdhsa_user_sgpr_kernarg_segment_ptr 1
		.amdhsa_user_sgpr_dispatch_id 0
		.amdhsa_user_sgpr_kernarg_preload_length 0
		.amdhsa_user_sgpr_kernarg_preload_offset 0
		.amdhsa_user_sgpr_private_segment_size 0
		.amdhsa_wavefront_size32 1
		.amdhsa_uses_dynamic_stack 0
		.amdhsa_enable_private_segment 0
		.amdhsa_system_sgpr_workgroup_id_x 1
		.amdhsa_system_sgpr_workgroup_id_y 0
		.amdhsa_system_sgpr_workgroup_id_z 0
		.amdhsa_system_sgpr_workgroup_info 0
		.amdhsa_system_vgpr_workitem_id 0
		.amdhsa_next_free_vgpr 7
		.amdhsa_next_free_sgpr 9
		.amdhsa_named_barrier_count 0
		.amdhsa_reserve_vcc 0
		.amdhsa_float_round_mode_32 0
		.amdhsa_float_round_mode_16_64 0
		.amdhsa_float_denorm_mode_32 3
		.amdhsa_float_denorm_mode_16_64 3
		.amdhsa_fp16_overflow 0
		.amdhsa_memory_ordered 1
		.amdhsa_forward_progress 1
		.amdhsa_inst_pref_size 2
		.amdhsa_round_robin_scheduling 0
		.amdhsa_exception_fp_ieee_invalid_op 0
		.amdhsa_exception_fp_denorm_src 0
		.amdhsa_exception_fp_ieee_div_zero 0
		.amdhsa_exception_fp_ieee_overflow 0
		.amdhsa_exception_fp_ieee_underflow 0
		.amdhsa_exception_fp_ieee_inexact 0
		.amdhsa_exception_int_div_zero 0
	.end_amdhsa_kernel
	.section	.text._Z25scatter_to_blocked_kernelIiiLj384ELj3EEvPT_PT0_Pj,"axG",@progbits,_Z25scatter_to_blocked_kernelIiiLj384ELj3EEvPT_PT0_Pj,comdat
.Lfunc_end82:
	.size	_Z25scatter_to_blocked_kernelIiiLj384ELj3EEvPT_PT0_Pj, .Lfunc_end82-_Z25scatter_to_blocked_kernelIiiLj384ELj3EEvPT_PT0_Pj
                                        ; -- End function
	.set _Z25scatter_to_blocked_kernelIiiLj384ELj3EEvPT_PT0_Pj.num_vgpr, 7
	.set _Z25scatter_to_blocked_kernelIiiLj384ELj3EEvPT_PT0_Pj.num_agpr, 0
	.set _Z25scatter_to_blocked_kernelIiiLj384ELj3EEvPT_PT0_Pj.numbered_sgpr, 9
	.set _Z25scatter_to_blocked_kernelIiiLj384ELj3EEvPT_PT0_Pj.num_named_barrier, 0
	.set _Z25scatter_to_blocked_kernelIiiLj384ELj3EEvPT_PT0_Pj.private_seg_size, 0
	.set _Z25scatter_to_blocked_kernelIiiLj384ELj3EEvPT_PT0_Pj.uses_vcc, 0
	.set _Z25scatter_to_blocked_kernelIiiLj384ELj3EEvPT_PT0_Pj.uses_flat_scratch, 0
	.set _Z25scatter_to_blocked_kernelIiiLj384ELj3EEvPT_PT0_Pj.has_dyn_sized_stack, 0
	.set _Z25scatter_to_blocked_kernelIiiLj384ELj3EEvPT_PT0_Pj.has_recursion, 0
	.set _Z25scatter_to_blocked_kernelIiiLj384ELj3EEvPT_PT0_Pj.has_indirect_call, 0
	.section	.AMDGPU.csdata,"",@progbits
; Kernel info:
; codeLenInByte = 220
; TotalNumSgprs: 9
; NumVgprs: 7
; ScratchSize: 0
; MemoryBound: 0
; FloatMode: 240
; IeeeMode: 1
; LDSByteSize: 1536 bytes/workgroup (compile time only)
; SGPRBlocks: 0
; VGPRBlocks: 0
; NumSGPRsForWavesPerEU: 9
; NumVGPRsForWavesPerEU: 7
; NamedBarCnt: 0
; Occupancy: 16
; WaveLimiterHint : 0
; COMPUTE_PGM_RSRC2:SCRATCH_EN: 0
; COMPUTE_PGM_RSRC2:USER_SGPR: 2
; COMPUTE_PGM_RSRC2:TRAP_HANDLER: 0
; COMPUTE_PGM_RSRC2:TGID_X_EN: 1
; COMPUTE_PGM_RSRC2:TGID_Y_EN: 0
; COMPUTE_PGM_RSRC2:TGID_Z_EN: 0
; COMPUTE_PGM_RSRC2:TIDIG_COMP_CNT: 0
	.section	.text._Z25scatter_to_blocked_kernelIs5dummyIfELj896ELj7EEvPT_PT0_Pj,"axG",@progbits,_Z25scatter_to_blocked_kernelIs5dummyIfELj896ELj7EEvPT_PT0_Pj,comdat
	.protected	_Z25scatter_to_blocked_kernelIs5dummyIfELj896ELj7EEvPT_PT0_Pj ; -- Begin function _Z25scatter_to_blocked_kernelIs5dummyIfELj896ELj7EEvPT_PT0_Pj
	.globl	_Z25scatter_to_blocked_kernelIs5dummyIfELj896ELj7EEvPT_PT0_Pj
	.p2align	8
	.type	_Z25scatter_to_blocked_kernelIs5dummyIfELj896ELj7EEvPT_PT0_Pj,@function
_Z25scatter_to_blocked_kernelIs5dummyIfELj896ELj7EEvPT_PT0_Pj: ; @_Z25scatter_to_blocked_kernelIs5dummyIfELj896ELj7EEvPT_PT0_Pj
; %bb.0:
	s_clause 0x1
	s_load_b64 s[2:3], s[0:1], 0x10
	s_load_b128 s[4:7], s[0:1], 0x0
	s_wait_xcnt 0x0
	s_bfe_u32 s0, ttmp6, 0x4000c
	s_and_b32 s1, ttmp6, 15
	s_add_co_i32 s0, s0, 1
	s_getreg_b32 s8, hwreg(HW_REG_IB_STS2, 6, 4)
	s_mul_i32 s0, ttmp9, s0
	v_mul_u32_u24_e32 v14, 7, v0
	s_add_co_i32 s1, s1, s0
	s_cmp_eq_u32 s8, 0
	s_cselect_b32 s0, ttmp9, s1
	s_mov_b32 s1, 0
	s_mulk_i32 s0, 0x380
	v_dual_lshlrev_b32 v4, 2, v14 :: v_dual_lshlrev_b32 v7, 1, v14
	s_lshl_b64 s[8:9], s[0:1], 2
	s_wait_kmcnt 0x0
	s_add_nc_u64 s[2:3], s[2:3], s[8:9]
	s_lshl_b64 s[8:9], s[0:1], 1
	s_clause 0x1
	global_load_b128 v[0:3], v4, s[2:3]
	global_load_b96 v[4:6], v4, s[2:3] offset:16
	s_wait_xcnt 0x0
	s_add_nc_u64 s[2:3], s[4:5], s[8:9]
	s_clause 0x1
	global_load_b96 v[8:10], v7, s[2:3]
	global_load_u16 v11, v14, s[2:3] offset:12 scale_offset
	s_lshl_b64 s[0:1], s[0:1], 3
	s_delay_alu instid0(SALU_CYCLE_1)
	s_add_nc_u64 s[0:1], s[6:7], s[0:1]
	s_wait_loadcnt 0x3
	v_dual_lshlrev_b32 v0, 1, v0 :: v_dual_lshlrev_b32 v1, 1, v1
	v_dual_lshlrev_b32 v2, 1, v2 :: v_dual_lshlrev_b32 v3, 1, v3
	s_wait_loadcnt 0x2
	v_dual_lshlrev_b32 v4, 1, v4 :: v_dual_lshlrev_b32 v5, 1, v5
	v_lshlrev_b32_e32 v6, 1, v6
	s_wait_loadcnt 0x1
	ds_store_b16 v0, v8
	ds_store_b16_d16_hi v1, v8
	ds_store_b16 v2, v9
	ds_store_b16_d16_hi v3, v9
	;; [unrolled: 2-line block ×3, first 2 shown]
	s_wait_loadcnt 0x0
	ds_store_b16 v6, v11
	s_wait_dscnt 0x0
	s_barrier_signal -1
	s_barrier_wait -1
	ds_load_b96 v[0:2], v7
	ds_load_i16 v3, v7 offset:12
	v_lshlrev_b32_e32 v15, 3, v14
	s_wait_dscnt 0x1
	v_bfe_i32 v4, v0, 0, 16
	v_bfe_i32 v5, v1, 0, 16
	v_dual_ashrrev_i32 v1, 16, v1 :: v_dual_ashrrev_i32 v0, 16, v0
	v_bfe_i32 v6, v2, 0, 16
	s_wait_dscnt 0x0
	v_dual_ashrrev_i32 v2, 16, v2 :: v_dual_add_nc_u32 v7, 1, v3
	v_dual_lshlrev_b32 v3, 1, v3 :: v_dual_add_nc_u32 v8, 1, v4
	v_dual_lshlrev_b32 v4, 1, v4 :: v_dual_add_nc_u32 v10, 1, v5
	;; [unrolled: 1-line block ×3, first 2 shown]
	v_dual_add_nc_u32 v11, 1, v1 :: v_dual_lshlrev_b32 v17, 1, v1
	v_dual_add_nc_u32 v16, 1, v0 :: v_dual_lshlrev_b32 v9, 1, v0
	v_lshlrev_b32_e32 v19, 1, v6
	v_dual_add_nc_u32 v20, 1, v2 :: v_dual_lshlrev_b32 v2, 1, v2
	v_cvt_f32_i32_e32 v12, v7
	v_cvt_f32_i32_e32 v1, v4
	;; [unrolled: 1-line block ×14, first 2 shown]
	s_clause 0x3
	global_store_b128 v15, v[4:7], s[0:1] offset:16
	global_store_b128 v15, v[8:11], s[0:1] offset:32
	global_store_b128 v15, v[0:3], s[0:1]
	global_store_b64 v14, v[12:13], s[0:1] offset:48 scale_offset
	s_endpgm
	.section	.rodata,"a",@progbits
	.p2align	6, 0x0
	.amdhsa_kernel _Z25scatter_to_blocked_kernelIs5dummyIfELj896ELj7EEvPT_PT0_Pj
		.amdhsa_group_segment_fixed_size 1792
		.amdhsa_private_segment_fixed_size 0
		.amdhsa_kernarg_size 24
		.amdhsa_user_sgpr_count 2
		.amdhsa_user_sgpr_dispatch_ptr 0
		.amdhsa_user_sgpr_queue_ptr 0
		.amdhsa_user_sgpr_kernarg_segment_ptr 1
		.amdhsa_user_sgpr_dispatch_id 0
		.amdhsa_user_sgpr_kernarg_preload_length 0
		.amdhsa_user_sgpr_kernarg_preload_offset 0
		.amdhsa_user_sgpr_private_segment_size 0
		.amdhsa_wavefront_size32 1
		.amdhsa_uses_dynamic_stack 0
		.amdhsa_enable_private_segment 0
		.amdhsa_system_sgpr_workgroup_id_x 1
		.amdhsa_system_sgpr_workgroup_id_y 0
		.amdhsa_system_sgpr_workgroup_id_z 0
		.amdhsa_system_sgpr_workgroup_info 0
		.amdhsa_system_vgpr_workitem_id 0
		.amdhsa_next_free_vgpr 21
		.amdhsa_next_free_sgpr 10
		.amdhsa_named_barrier_count 0
		.amdhsa_reserve_vcc 0
		.amdhsa_float_round_mode_32 0
		.amdhsa_float_round_mode_16_64 0
		.amdhsa_float_denorm_mode_32 3
		.amdhsa_float_denorm_mode_16_64 3
		.amdhsa_fp16_overflow 0
		.amdhsa_memory_ordered 1
		.amdhsa_forward_progress 1
		.amdhsa_inst_pref_size 5
		.amdhsa_round_robin_scheduling 0
		.amdhsa_exception_fp_ieee_invalid_op 0
		.amdhsa_exception_fp_denorm_src 0
		.amdhsa_exception_fp_ieee_div_zero 0
		.amdhsa_exception_fp_ieee_overflow 0
		.amdhsa_exception_fp_ieee_underflow 0
		.amdhsa_exception_fp_ieee_inexact 0
		.amdhsa_exception_int_div_zero 0
	.end_amdhsa_kernel
	.section	.text._Z25scatter_to_blocked_kernelIs5dummyIfELj896ELj7EEvPT_PT0_Pj,"axG",@progbits,_Z25scatter_to_blocked_kernelIs5dummyIfELj896ELj7EEvPT_PT0_Pj,comdat
.Lfunc_end83:
	.size	_Z25scatter_to_blocked_kernelIs5dummyIfELj896ELj7EEvPT_PT0_Pj, .Lfunc_end83-_Z25scatter_to_blocked_kernelIs5dummyIfELj896ELj7EEvPT_PT0_Pj
                                        ; -- End function
	.set _Z25scatter_to_blocked_kernelIs5dummyIfELj896ELj7EEvPT_PT0_Pj.num_vgpr, 21
	.set _Z25scatter_to_blocked_kernelIs5dummyIfELj896ELj7EEvPT_PT0_Pj.num_agpr, 0
	.set _Z25scatter_to_blocked_kernelIs5dummyIfELj896ELj7EEvPT_PT0_Pj.numbered_sgpr, 10
	.set _Z25scatter_to_blocked_kernelIs5dummyIfELj896ELj7EEvPT_PT0_Pj.num_named_barrier, 0
	.set _Z25scatter_to_blocked_kernelIs5dummyIfELj896ELj7EEvPT_PT0_Pj.private_seg_size, 0
	.set _Z25scatter_to_blocked_kernelIs5dummyIfELj896ELj7EEvPT_PT0_Pj.uses_vcc, 0
	.set _Z25scatter_to_blocked_kernelIs5dummyIfELj896ELj7EEvPT_PT0_Pj.uses_flat_scratch, 0
	.set _Z25scatter_to_blocked_kernelIs5dummyIfELj896ELj7EEvPT_PT0_Pj.has_dyn_sized_stack, 0
	.set _Z25scatter_to_blocked_kernelIs5dummyIfELj896ELj7EEvPT_PT0_Pj.has_recursion, 0
	.set _Z25scatter_to_blocked_kernelIs5dummyIfELj896ELj7EEvPT_PT0_Pj.has_indirect_call, 0
	.section	.AMDGPU.csdata,"",@progbits
; Kernel info:
; codeLenInByte = 564
; TotalNumSgprs: 10
; NumVgprs: 21
; ScratchSize: 0
; MemoryBound: 0
; FloatMode: 240
; IeeeMode: 1
; LDSByteSize: 1792 bytes/workgroup (compile time only)
; SGPRBlocks: 0
; VGPRBlocks: 1
; NumSGPRsForWavesPerEU: 10
; NumVGPRsForWavesPerEU: 21
; NamedBarCnt: 0
; Occupancy: 16
; WaveLimiterHint : 0
; COMPUTE_PGM_RSRC2:SCRATCH_EN: 0
; COMPUTE_PGM_RSRC2:USER_SGPR: 2
; COMPUTE_PGM_RSRC2:TRAP_HANDLER: 0
; COMPUTE_PGM_RSRC2:TGID_X_EN: 1
; COMPUTE_PGM_RSRC2:TGID_Y_EN: 0
; COMPUTE_PGM_RSRC2:TGID_Z_EN: 0
; COMPUTE_PGM_RSRC2:TIDIG_COMP_CNT: 0
	.section	.text._Z25scatter_to_blocked_kernelIiiLj2560ELj5EEvPT_PT0_Pj,"axG",@progbits,_Z25scatter_to_blocked_kernelIiiLj2560ELj5EEvPT_PT0_Pj,comdat
	.protected	_Z25scatter_to_blocked_kernelIiiLj2560ELj5EEvPT_PT0_Pj ; -- Begin function _Z25scatter_to_blocked_kernelIiiLj2560ELj5EEvPT_PT0_Pj
	.globl	_Z25scatter_to_blocked_kernelIiiLj2560ELj5EEvPT_PT0_Pj
	.p2align	8
	.type	_Z25scatter_to_blocked_kernelIiiLj2560ELj5EEvPT_PT0_Pj,@function
_Z25scatter_to_blocked_kernelIiiLj2560ELj5EEvPT_PT0_Pj: ; @_Z25scatter_to_blocked_kernelIiiLj2560ELj5EEvPT_PT0_Pj
; %bb.0:
	s_clause 0x1
	s_load_b64 s[2:3], s[0:1], 0x10
	s_load_b128 s[4:7], s[0:1], 0x0
	s_wait_xcnt 0x0
	s_bfe_u32 s0, ttmp6, 0x4000c
	s_and_b32 s1, ttmp6, 15
	s_add_co_i32 s0, s0, 1
	s_getreg_b32 s8, hwreg(HW_REG_IB_STS2, 6, 4)
	s_mul_i32 s0, ttmp9, s0
	v_mul_u32_u24_e32 v8, 5, v0
	s_add_co_i32 s1, s1, s0
	s_cmp_eq_u32 s8, 0
	s_cselect_b32 s0, ttmp9, s1
	s_mov_b32 s1, 0
	s_mulk_i32 s0, 0xa00
	v_lshlrev_b32_e32 v9, 2, v8
	s_lshl_b64 s[0:1], s[0:1], 2
	s_wait_kmcnt 0x0
	s_add_nc_u64 s[2:3], s[2:3], s[0:1]
	s_add_nc_u64 s[4:5], s[4:5], s[0:1]
	global_load_b128 v[0:3], v9, s[2:3]
	s_add_nc_u64 s[0:1], s[6:7], s[0:1]
	s_wait_loadcnt 0x0
	v_lshlrev_b32_e32 v1, 2, v1
	global_load_b32 v10, v8, s[2:3] offset:16 scale_offset
	s_clause 0x1
	global_load_b128 v[4:7], v9, s[4:5]
	global_load_b32 v11, v8, s[4:5] offset:16 scale_offset
	v_dual_lshlrev_b32 v0, 2, v0 :: v_dual_lshlrev_b32 v2, 2, v2
	s_wait_loadcnt 0x2
	v_dual_lshlrev_b32 v3, 2, v3 :: v_dual_lshlrev_b32 v10, 2, v10
	s_wait_loadcnt 0x1
	ds_store_b32 v0, v4
	ds_store_b32 v1, v5
	;; [unrolled: 1-line block ×4, first 2 shown]
	s_wait_loadcnt 0x0
	ds_store_b32 v10, v11
	s_wait_dscnt 0x0
	s_barrier_signal -1
	s_barrier_wait -1
	ds_load_2addr_b32 v[0:1], v9 offset1:1
	ds_load_2addr_b32 v[2:3], v9 offset0:2 offset1:3
	ds_load_b32 v4, v9 offset:16
	s_wait_dscnt 0x1
	global_store_b128 v9, v[0:3], s[0:1]
	s_wait_dscnt 0x0
	global_store_b32 v8, v4, s[0:1] offset:16 scale_offset
	s_endpgm
	.section	.rodata,"a",@progbits
	.p2align	6, 0x0
	.amdhsa_kernel _Z25scatter_to_blocked_kernelIiiLj2560ELj5EEvPT_PT0_Pj
		.amdhsa_group_segment_fixed_size 10240
		.amdhsa_private_segment_fixed_size 0
		.amdhsa_kernarg_size 24
		.amdhsa_user_sgpr_count 2
		.amdhsa_user_sgpr_dispatch_ptr 0
		.amdhsa_user_sgpr_queue_ptr 0
		.amdhsa_user_sgpr_kernarg_segment_ptr 1
		.amdhsa_user_sgpr_dispatch_id 0
		.amdhsa_user_sgpr_kernarg_preload_length 0
		.amdhsa_user_sgpr_kernarg_preload_offset 0
		.amdhsa_user_sgpr_private_segment_size 0
		.amdhsa_wavefront_size32 1
		.amdhsa_uses_dynamic_stack 0
		.amdhsa_enable_private_segment 0
		.amdhsa_system_sgpr_workgroup_id_x 1
		.amdhsa_system_sgpr_workgroup_id_y 0
		.amdhsa_system_sgpr_workgroup_id_z 0
		.amdhsa_system_sgpr_workgroup_info 0
		.amdhsa_system_vgpr_workitem_id 0
		.amdhsa_next_free_vgpr 12
		.amdhsa_next_free_sgpr 9
		.amdhsa_named_barrier_count 0
		.amdhsa_reserve_vcc 0
		.amdhsa_float_round_mode_32 0
		.amdhsa_float_round_mode_16_64 0
		.amdhsa_float_denorm_mode_32 3
		.amdhsa_float_denorm_mode_16_64 3
		.amdhsa_fp16_overflow 0
		.amdhsa_memory_ordered 1
		.amdhsa_forward_progress 1
		.amdhsa_inst_pref_size 3
		.amdhsa_round_robin_scheduling 0
		.amdhsa_exception_fp_ieee_invalid_op 0
		.amdhsa_exception_fp_denorm_src 0
		.amdhsa_exception_fp_ieee_div_zero 0
		.amdhsa_exception_fp_ieee_overflow 0
		.amdhsa_exception_fp_ieee_underflow 0
		.amdhsa_exception_fp_ieee_inexact 0
		.amdhsa_exception_int_div_zero 0
	.end_amdhsa_kernel
	.section	.text._Z25scatter_to_blocked_kernelIiiLj2560ELj5EEvPT_PT0_Pj,"axG",@progbits,_Z25scatter_to_blocked_kernelIiiLj2560ELj5EEvPT_PT0_Pj,comdat
.Lfunc_end84:
	.size	_Z25scatter_to_blocked_kernelIiiLj2560ELj5EEvPT_PT0_Pj, .Lfunc_end84-_Z25scatter_to_blocked_kernelIiiLj2560ELj5EEvPT_PT0_Pj
                                        ; -- End function
	.set _Z25scatter_to_blocked_kernelIiiLj2560ELj5EEvPT_PT0_Pj.num_vgpr, 12
	.set _Z25scatter_to_blocked_kernelIiiLj2560ELj5EEvPT_PT0_Pj.num_agpr, 0
	.set _Z25scatter_to_blocked_kernelIiiLj2560ELj5EEvPT_PT0_Pj.numbered_sgpr, 9
	.set _Z25scatter_to_blocked_kernelIiiLj2560ELj5EEvPT_PT0_Pj.num_named_barrier, 0
	.set _Z25scatter_to_blocked_kernelIiiLj2560ELj5EEvPT_PT0_Pj.private_seg_size, 0
	.set _Z25scatter_to_blocked_kernelIiiLj2560ELj5EEvPT_PT0_Pj.uses_vcc, 0
	.set _Z25scatter_to_blocked_kernelIiiLj2560ELj5EEvPT_PT0_Pj.uses_flat_scratch, 0
	.set _Z25scatter_to_blocked_kernelIiiLj2560ELj5EEvPT_PT0_Pj.has_dyn_sized_stack, 0
	.set _Z25scatter_to_blocked_kernelIiiLj2560ELj5EEvPT_PT0_Pj.has_recursion, 0
	.set _Z25scatter_to_blocked_kernelIiiLj2560ELj5EEvPT_PT0_Pj.has_indirect_call, 0
	.section	.AMDGPU.csdata,"",@progbits
; Kernel info:
; codeLenInByte = 304
; TotalNumSgprs: 9
; NumVgprs: 12
; ScratchSize: 0
; MemoryBound: 0
; FloatMode: 240
; IeeeMode: 1
; LDSByteSize: 10240 bytes/workgroup (compile time only)
; SGPRBlocks: 0
; VGPRBlocks: 0
; NumSGPRsForWavesPerEU: 9
; NumVGPRsForWavesPerEU: 12
; NamedBarCnt: 0
; Occupancy: 16
; WaveLimiterHint : 0
; COMPUTE_PGM_RSRC2:SCRATCH_EN: 0
; COMPUTE_PGM_RSRC2:USER_SGPR: 2
; COMPUTE_PGM_RSRC2:TRAP_HANDLER: 0
; COMPUTE_PGM_RSRC2:TGID_X_EN: 1
; COMPUTE_PGM_RSRC2:TGID_Y_EN: 0
; COMPUTE_PGM_RSRC2:TGID_Z_EN: 0
; COMPUTE_PGM_RSRC2:TIDIG_COMP_CNT: 0
	.section	.text._Z25scatter_to_blocked_kernelIxxLj1024ELj4EEvPT_PT0_Pj,"axG",@progbits,_Z25scatter_to_blocked_kernelIxxLj1024ELj4EEvPT_PT0_Pj,comdat
	.protected	_Z25scatter_to_blocked_kernelIxxLj1024ELj4EEvPT_PT0_Pj ; -- Begin function _Z25scatter_to_blocked_kernelIxxLj1024ELj4EEvPT_PT0_Pj
	.globl	_Z25scatter_to_blocked_kernelIxxLj1024ELj4EEvPT_PT0_Pj
	.p2align	8
	.type	_Z25scatter_to_blocked_kernelIxxLj1024ELj4EEvPT_PT0_Pj,@function
_Z25scatter_to_blocked_kernelIxxLj1024ELj4EEvPT_PT0_Pj: ; @_Z25scatter_to_blocked_kernelIxxLj1024ELj4EEvPT_PT0_Pj
; %bb.0:
	s_load_b64 s[4:5], s[0:1], 0x10
	s_bfe_u32 s2, ttmp6, 0x4000c
	s_and_b32 s3, ttmp6, 15
	s_add_co_i32 s2, s2, 1
	s_getreg_b32 s6, hwreg(HW_REG_IB_STS2, 6, 4)
	s_mul_i32 s2, ttmp9, s2
	s_delay_alu instid0(SALU_CYCLE_1)
	s_add_co_i32 s7, s3, s2
	s_cmp_eq_u32 s6, 0
	s_wait_xcnt 0x0
	s_load_b128 s[0:3], s[0:1], 0x0
	s_cselect_b32 s6, ttmp9, s7
	s_mov_b32 s7, 0
	s_lshl_b32 s6, s6, 10
	s_delay_alu instid0(SALU_CYCLE_1)
	s_lshl_b64 s[8:9], s[6:7], 2
	s_wait_kmcnt 0x0
	s_add_nc_u64 s[4:5], s[4:5], s[8:9]
	global_load_b128 v[2:5], v0, s[4:5] scale_offset
	v_lshlrev_b32_e32 v14, 5, v0
	s_wait_xcnt 0x0
	s_lshl_b64 s[4:5], s[6:7], 3
	v_and_b32_e32 v0, 0x1f8, v0
	s_add_nc_u64 s[0:1], s[0:1], s[4:5]
	s_wait_loadcnt 0x0
	v_lshrrev_b32_e32 v1, 2, v2
	s_clause 0x1
	global_load_b128 v[6:9], v14, s[0:1]
	global_load_b128 v[10:13], v14, s[0:1] offset:16
	v_dual_lshrrev_b32 v15, 2, v3 :: v_dual_lshrrev_b32 v16, 2, v4
	v_lshrrev_b32_e32 v17, 2, v5
	v_and_b32_e32 v1, 0x3ffffff8, v1
	s_wait_xcnt 0x0
	s_add_nc_u64 s[0:1], s[2:3], s[4:5]
	v_and_b32_e32 v15, 0x3ffffff8, v15
	v_and_b32_e32 v16, 0x3ffffff8, v16
	;; [unrolled: 1-line block ×3, first 2 shown]
	v_lshl_add_u32 v1, v2, 3, v1
	s_delay_alu instid0(VALU_DEP_4) | instskip(NEXT) | instid1(VALU_DEP_4)
	v_lshl_add_u32 v2, v3, 3, v15
	v_lshl_add_u32 v3, v4, 3, v16
	s_delay_alu instid0(VALU_DEP_4)
	v_lshl_add_u32 v4, v5, 3, v17
	v_add_nc_u32_e32 v5, v0, v14
	s_wait_loadcnt 0x1
	ds_store_b64 v1, v[6:7]
	ds_store_b64 v2, v[8:9]
	s_wait_loadcnt 0x0
	ds_store_b64 v3, v[10:11]
	ds_store_b64 v4, v[12:13]
	s_wait_dscnt 0x0
	s_barrier_signal -1
	s_barrier_wait -1
	ds_load_2addr_b64 v[0:3], v5 offset1:1
	ds_load_2addr_b64 v[4:7], v5 offset0:2 offset1:3
	s_wait_dscnt 0x1
	global_store_b128 v14, v[0:3], s[0:1]
	s_wait_dscnt 0x0
	global_store_b128 v14, v[4:7], s[0:1] offset:16
	s_endpgm
	.section	.rodata,"a",@progbits
	.p2align	6, 0x0
	.amdhsa_kernel _Z25scatter_to_blocked_kernelIxxLj1024ELj4EEvPT_PT0_Pj
		.amdhsa_group_segment_fixed_size 8448
		.amdhsa_private_segment_fixed_size 0
		.amdhsa_kernarg_size 24
		.amdhsa_user_sgpr_count 2
		.amdhsa_user_sgpr_dispatch_ptr 0
		.amdhsa_user_sgpr_queue_ptr 0
		.amdhsa_user_sgpr_kernarg_segment_ptr 1
		.amdhsa_user_sgpr_dispatch_id 0
		.amdhsa_user_sgpr_kernarg_preload_length 0
		.amdhsa_user_sgpr_kernarg_preload_offset 0
		.amdhsa_user_sgpr_private_segment_size 0
		.amdhsa_wavefront_size32 1
		.amdhsa_uses_dynamic_stack 0
		.amdhsa_enable_private_segment 0
		.amdhsa_system_sgpr_workgroup_id_x 1
		.amdhsa_system_sgpr_workgroup_id_y 0
		.amdhsa_system_sgpr_workgroup_id_z 0
		.amdhsa_system_sgpr_workgroup_info 0
		.amdhsa_system_vgpr_workitem_id 0
		.amdhsa_next_free_vgpr 18
		.amdhsa_next_free_sgpr 10
		.amdhsa_named_barrier_count 0
		.amdhsa_reserve_vcc 0
		.amdhsa_float_round_mode_32 0
		.amdhsa_float_round_mode_16_64 0
		.amdhsa_float_denorm_mode_32 3
		.amdhsa_float_denorm_mode_16_64 3
		.amdhsa_fp16_overflow 0
		.amdhsa_memory_ordered 1
		.amdhsa_forward_progress 1
		.amdhsa_inst_pref_size 3
		.amdhsa_round_robin_scheduling 0
		.amdhsa_exception_fp_ieee_invalid_op 0
		.amdhsa_exception_fp_denorm_src 0
		.amdhsa_exception_fp_ieee_div_zero 0
		.amdhsa_exception_fp_ieee_overflow 0
		.amdhsa_exception_fp_ieee_underflow 0
		.amdhsa_exception_fp_ieee_inexact 0
		.amdhsa_exception_int_div_zero 0
	.end_amdhsa_kernel
	.section	.text._Z25scatter_to_blocked_kernelIxxLj1024ELj4EEvPT_PT0_Pj,"axG",@progbits,_Z25scatter_to_blocked_kernelIxxLj1024ELj4EEvPT_PT0_Pj,comdat
.Lfunc_end85:
	.size	_Z25scatter_to_blocked_kernelIxxLj1024ELj4EEvPT_PT0_Pj, .Lfunc_end85-_Z25scatter_to_blocked_kernelIxxLj1024ELj4EEvPT_PT0_Pj
                                        ; -- End function
	.set _Z25scatter_to_blocked_kernelIxxLj1024ELj4EEvPT_PT0_Pj.num_vgpr, 18
	.set _Z25scatter_to_blocked_kernelIxxLj1024ELj4EEvPT_PT0_Pj.num_agpr, 0
	.set _Z25scatter_to_blocked_kernelIxxLj1024ELj4EEvPT_PT0_Pj.numbered_sgpr, 10
	.set _Z25scatter_to_blocked_kernelIxxLj1024ELj4EEvPT_PT0_Pj.num_named_barrier, 0
	.set _Z25scatter_to_blocked_kernelIxxLj1024ELj4EEvPT_PT0_Pj.private_seg_size, 0
	.set _Z25scatter_to_blocked_kernelIxxLj1024ELj4EEvPT_PT0_Pj.uses_vcc, 0
	.set _Z25scatter_to_blocked_kernelIxxLj1024ELj4EEvPT_PT0_Pj.uses_flat_scratch, 0
	.set _Z25scatter_to_blocked_kernelIxxLj1024ELj4EEvPT_PT0_Pj.has_dyn_sized_stack, 0
	.set _Z25scatter_to_blocked_kernelIxxLj1024ELj4EEvPT_PT0_Pj.has_recursion, 0
	.set _Z25scatter_to_blocked_kernelIxxLj1024ELj4EEvPT_PT0_Pj.has_indirect_call, 0
	.section	.AMDGPU.csdata,"",@progbits
; Kernel info:
; codeLenInByte = 360
; TotalNumSgprs: 10
; NumVgprs: 18
; ScratchSize: 0
; MemoryBound: 0
; FloatMode: 240
; IeeeMode: 1
; LDSByteSize: 8448 bytes/workgroup (compile time only)
; SGPRBlocks: 0
; VGPRBlocks: 1
; NumSGPRsForWavesPerEU: 10
; NumVGPRsForWavesPerEU: 18
; NamedBarCnt: 0
; Occupancy: 16
; WaveLimiterHint : 0
; COMPUTE_PGM_RSRC2:SCRATCH_EN: 0
; COMPUTE_PGM_RSRC2:USER_SGPR: 2
; COMPUTE_PGM_RSRC2:TRAP_HANDLER: 0
; COMPUTE_PGM_RSRC2:TGID_X_EN: 1
; COMPUTE_PGM_RSRC2:TGID_Y_EN: 0
; COMPUTE_PGM_RSRC2:TGID_Z_EN: 0
; COMPUTE_PGM_RSRC2:TIDIG_COMP_CNT: 0
	.section	.text._Z25scatter_to_blocked_kernelIiiLj128ELj2EEvPT_PT0_Pj,"axG",@progbits,_Z25scatter_to_blocked_kernelIiiLj128ELj2EEvPT_PT0_Pj,comdat
	.protected	_Z25scatter_to_blocked_kernelIiiLj128ELj2EEvPT_PT0_Pj ; -- Begin function _Z25scatter_to_blocked_kernelIiiLj128ELj2EEvPT_PT0_Pj
	.globl	_Z25scatter_to_blocked_kernelIiiLj128ELj2EEvPT_PT0_Pj
	.p2align	8
	.type	_Z25scatter_to_blocked_kernelIiiLj128ELj2EEvPT_PT0_Pj,@function
_Z25scatter_to_blocked_kernelIiiLj128ELj2EEvPT_PT0_Pj: ; @_Z25scatter_to_blocked_kernelIiiLj128ELj2EEvPT_PT0_Pj
; %bb.0:
	s_load_b64 s[4:5], s[0:1], 0x10
	s_bfe_u32 s2, ttmp6, 0x4000c
	s_and_b32 s3, ttmp6, 15
	s_add_co_i32 s2, s2, 1
	s_getreg_b32 s6, hwreg(HW_REG_IB_STS2, 6, 4)
	s_mul_i32 s2, ttmp9, s2
	v_lshrrev_b32_e32 v7, 2, v0
	s_add_co_i32 s7, s3, s2
	s_cmp_eq_u32 s6, 0
	s_wait_xcnt 0x0
	s_load_b128 s[0:3], s[0:1], 0x0
	s_cselect_b32 s6, ttmp9, s7
	s_mov_b32 s7, 0
	s_lshl_b32 s6, s6, 7
	v_and_b32_e32 v7, 0x7c, v7
	s_lshl_b64 s[6:7], s[6:7], 2
	s_wait_kmcnt 0x0
	s_add_nc_u64 s[4:5], s[4:5], s[6:7]
	global_load_b64 v[2:3], v0, s[4:5] scale_offset
	s_add_nc_u64 s[0:1], s[0:1], s[6:7]
	global_load_b64 v[4:5], v0, s[0:1] scale_offset
	s_wait_xcnt 0x0
	s_add_nc_u64 s[0:1], s[2:3], s[6:7]
	s_wait_loadcnt 0x1
	v_dual_lshrrev_b32 v1, 3, v2 :: v_dual_lshrrev_b32 v6, 3, v3
	s_delay_alu instid0(VALU_DEP_1) | instskip(NEXT) | instid1(VALU_DEP_2)
	v_and_b32_e32 v1, 0x1ffffffc, v1
	v_and_b32_e32 v6, 0x1ffffffc, v6
	s_delay_alu instid0(VALU_DEP_2) | instskip(NEXT) | instid1(VALU_DEP_2)
	v_lshl_add_u32 v1, v2, 2, v1
	v_lshl_add_u32 v2, v3, 2, v6
	;; [unrolled: 1-line block ×3, first 2 shown]
	s_wait_loadcnt 0x0
	ds_store_b32 v1, v4
	ds_store_b32 v2, v5
	s_wait_dscnt 0x0
	s_barrier_signal -1
	s_barrier_wait -1
	ds_load_2addr_b32 v[2:3], v3 offset1:1
	s_wait_dscnt 0x0
	global_store_b64 v0, v[2:3], s[0:1] scale_offset
	s_endpgm
	.section	.rodata,"a",@progbits
	.p2align	6, 0x0
	.amdhsa_kernel _Z25scatter_to_blocked_kernelIiiLj128ELj2EEvPT_PT0_Pj
		.amdhsa_group_segment_fixed_size 528
		.amdhsa_private_segment_fixed_size 0
		.amdhsa_kernarg_size 24
		.amdhsa_user_sgpr_count 2
		.amdhsa_user_sgpr_dispatch_ptr 0
		.amdhsa_user_sgpr_queue_ptr 0
		.amdhsa_user_sgpr_kernarg_segment_ptr 1
		.amdhsa_user_sgpr_dispatch_id 0
		.amdhsa_user_sgpr_kernarg_preload_length 0
		.amdhsa_user_sgpr_kernarg_preload_offset 0
		.amdhsa_user_sgpr_private_segment_size 0
		.amdhsa_wavefront_size32 1
		.amdhsa_uses_dynamic_stack 0
		.amdhsa_enable_private_segment 0
		.amdhsa_system_sgpr_workgroup_id_x 1
		.amdhsa_system_sgpr_workgroup_id_y 0
		.amdhsa_system_sgpr_workgroup_id_z 0
		.amdhsa_system_sgpr_workgroup_info 0
		.amdhsa_system_vgpr_workitem_id 0
		.amdhsa_next_free_vgpr 8
		.amdhsa_next_free_sgpr 8
		.amdhsa_named_barrier_count 0
		.amdhsa_reserve_vcc 0
		.amdhsa_float_round_mode_32 0
		.amdhsa_float_round_mode_16_64 0
		.amdhsa_float_denorm_mode_32 3
		.amdhsa_float_denorm_mode_16_64 3
		.amdhsa_fp16_overflow 0
		.amdhsa_memory_ordered 1
		.amdhsa_forward_progress 1
		.amdhsa_inst_pref_size 2
		.amdhsa_round_robin_scheduling 0
		.amdhsa_exception_fp_ieee_invalid_op 0
		.amdhsa_exception_fp_denorm_src 0
		.amdhsa_exception_fp_ieee_div_zero 0
		.amdhsa_exception_fp_ieee_overflow 0
		.amdhsa_exception_fp_ieee_underflow 0
		.amdhsa_exception_fp_ieee_inexact 0
		.amdhsa_exception_int_div_zero 0
	.end_amdhsa_kernel
	.section	.text._Z25scatter_to_blocked_kernelIiiLj128ELj2EEvPT_PT0_Pj,"axG",@progbits,_Z25scatter_to_blocked_kernelIiiLj128ELj2EEvPT_PT0_Pj,comdat
.Lfunc_end86:
	.size	_Z25scatter_to_blocked_kernelIiiLj128ELj2EEvPT_PT0_Pj, .Lfunc_end86-_Z25scatter_to_blocked_kernelIiiLj128ELj2EEvPT_PT0_Pj
                                        ; -- End function
	.set _Z25scatter_to_blocked_kernelIiiLj128ELj2EEvPT_PT0_Pj.num_vgpr, 8
	.set _Z25scatter_to_blocked_kernelIiiLj128ELj2EEvPT_PT0_Pj.num_agpr, 0
	.set _Z25scatter_to_blocked_kernelIiiLj128ELj2EEvPT_PT0_Pj.numbered_sgpr, 8
	.set _Z25scatter_to_blocked_kernelIiiLj128ELj2EEvPT_PT0_Pj.num_named_barrier, 0
	.set _Z25scatter_to_blocked_kernelIiiLj128ELj2EEvPT_PT0_Pj.private_seg_size, 0
	.set _Z25scatter_to_blocked_kernelIiiLj128ELj2EEvPT_PT0_Pj.uses_vcc, 0
	.set _Z25scatter_to_blocked_kernelIiiLj128ELj2EEvPT_PT0_Pj.uses_flat_scratch, 0
	.set _Z25scatter_to_blocked_kernelIiiLj128ELj2EEvPT_PT0_Pj.has_dyn_sized_stack, 0
	.set _Z25scatter_to_blocked_kernelIiiLj128ELj2EEvPT_PT0_Pj.has_recursion, 0
	.set _Z25scatter_to_blocked_kernelIiiLj128ELj2EEvPT_PT0_Pj.has_indirect_call, 0
	.section	.AMDGPU.csdata,"",@progbits
; Kernel info:
; codeLenInByte = 248
; TotalNumSgprs: 8
; NumVgprs: 8
; ScratchSize: 0
; MemoryBound: 0
; FloatMode: 240
; IeeeMode: 1
; LDSByteSize: 528 bytes/workgroup (compile time only)
; SGPRBlocks: 0
; VGPRBlocks: 0
; NumSGPRsForWavesPerEU: 8
; NumVGPRsForWavesPerEU: 8
; NamedBarCnt: 0
; Occupancy: 16
; WaveLimiterHint : 0
; COMPUTE_PGM_RSRC2:SCRATCH_EN: 0
; COMPUTE_PGM_RSRC2:USER_SGPR: 2
; COMPUTE_PGM_RSRC2:TRAP_HANDLER: 0
; COMPUTE_PGM_RSRC2:TGID_X_EN: 1
; COMPUTE_PGM_RSRC2:TGID_Y_EN: 0
; COMPUTE_PGM_RSRC2:TGID_Z_EN: 0
; COMPUTE_PGM_RSRC2:TIDIG_COMP_CNT: 0
	.section	.text._Z25scatter_to_blocked_kernelIxxLj512ELj1EEvPT_PT0_Pj,"axG",@progbits,_Z25scatter_to_blocked_kernelIxxLj512ELj1EEvPT_PT0_Pj,comdat
	.protected	_Z25scatter_to_blocked_kernelIxxLj512ELj1EEvPT_PT0_Pj ; -- Begin function _Z25scatter_to_blocked_kernelIxxLj512ELj1EEvPT_PT0_Pj
	.globl	_Z25scatter_to_blocked_kernelIxxLj512ELj1EEvPT_PT0_Pj
	.p2align	8
	.type	_Z25scatter_to_blocked_kernelIxxLj512ELj1EEvPT_PT0_Pj,@function
_Z25scatter_to_blocked_kernelIxxLj512ELj1EEvPT_PT0_Pj: ; @_Z25scatter_to_blocked_kernelIxxLj512ELj1EEvPT_PT0_Pj
; %bb.0:
	s_clause 0x1
	s_load_b64 s[2:3], s[0:1], 0x10
	s_load_b128 s[4:7], s[0:1], 0x0
	s_wait_xcnt 0x0
	s_bfe_u32 s0, ttmp6, 0x4000c
	s_and_b32 s1, ttmp6, 15
	s_add_co_i32 s0, s0, 1
	s_getreg_b32 s8, hwreg(HW_REG_IB_STS2, 6, 4)
	s_mul_i32 s0, ttmp9, s0
	v_lshlrev_b32_e32 v4, 3, v0
	s_add_co_i32 s1, s1, s0
	s_cmp_eq_u32 s8, 0
	s_cselect_b32 s0, ttmp9, s1
	s_mov_b32 s1, 0
	s_lshl_b32 s0, s0, 9
	s_delay_alu instid0(SALU_CYCLE_1)
	s_lshl_b64 s[8:9], s[0:1], 2
	s_lshl_b64 s[0:1], s[0:1], 3
	s_wait_kmcnt 0x0
	s_add_nc_u64 s[2:3], s[2:3], s[8:9]
	global_load_b32 v1, v0, s[2:3] scale_offset
	s_wait_xcnt 0x0
	s_add_nc_u64 s[2:3], s[4:5], s[0:1]
	s_add_nc_u64 s[0:1], s[6:7], s[0:1]
	global_load_b64 v[2:3], v0, s[2:3] scale_offset
	s_wait_loadcnt 0x1
	v_lshlrev_b32_e32 v1, 3, v1
	s_wait_loadcnt 0x0
	ds_store_b64 v1, v[2:3]
	s_wait_dscnt 0x0
	s_barrier_signal -1
	s_barrier_wait -1
	ds_load_b64 v[2:3], v4
	s_wait_dscnt 0x0
	global_store_b64 v0, v[2:3], s[0:1] scale_offset
	s_endpgm
	.section	.rodata,"a",@progbits
	.p2align	6, 0x0
	.amdhsa_kernel _Z25scatter_to_blocked_kernelIxxLj512ELj1EEvPT_PT0_Pj
		.amdhsa_group_segment_fixed_size 4096
		.amdhsa_private_segment_fixed_size 0
		.amdhsa_kernarg_size 24
		.amdhsa_user_sgpr_count 2
		.amdhsa_user_sgpr_dispatch_ptr 0
		.amdhsa_user_sgpr_queue_ptr 0
		.amdhsa_user_sgpr_kernarg_segment_ptr 1
		.amdhsa_user_sgpr_dispatch_id 0
		.amdhsa_user_sgpr_kernarg_preload_length 0
		.amdhsa_user_sgpr_kernarg_preload_offset 0
		.amdhsa_user_sgpr_private_segment_size 0
		.amdhsa_wavefront_size32 1
		.amdhsa_uses_dynamic_stack 0
		.amdhsa_enable_private_segment 0
		.amdhsa_system_sgpr_workgroup_id_x 1
		.amdhsa_system_sgpr_workgroup_id_y 0
		.amdhsa_system_sgpr_workgroup_id_z 0
		.amdhsa_system_sgpr_workgroup_info 0
		.amdhsa_system_vgpr_workitem_id 0
		.amdhsa_next_free_vgpr 5
		.amdhsa_next_free_sgpr 10
		.amdhsa_named_barrier_count 0
		.amdhsa_reserve_vcc 0
		.amdhsa_float_round_mode_32 0
		.amdhsa_float_round_mode_16_64 0
		.amdhsa_float_denorm_mode_32 3
		.amdhsa_float_denorm_mode_16_64 3
		.amdhsa_fp16_overflow 0
		.amdhsa_memory_ordered 1
		.amdhsa_forward_progress 1
		.amdhsa_inst_pref_size 2
		.amdhsa_round_robin_scheduling 0
		.amdhsa_exception_fp_ieee_invalid_op 0
		.amdhsa_exception_fp_denorm_src 0
		.amdhsa_exception_fp_ieee_div_zero 0
		.amdhsa_exception_fp_ieee_overflow 0
		.amdhsa_exception_fp_ieee_underflow 0
		.amdhsa_exception_fp_ieee_inexact 0
		.amdhsa_exception_int_div_zero 0
	.end_amdhsa_kernel
	.section	.text._Z25scatter_to_blocked_kernelIxxLj512ELj1EEvPT_PT0_Pj,"axG",@progbits,_Z25scatter_to_blocked_kernelIxxLj512ELj1EEvPT_PT0_Pj,comdat
.Lfunc_end87:
	.size	_Z25scatter_to_blocked_kernelIxxLj512ELj1EEvPT_PT0_Pj, .Lfunc_end87-_Z25scatter_to_blocked_kernelIxxLj512ELj1EEvPT_PT0_Pj
                                        ; -- End function
	.set _Z25scatter_to_blocked_kernelIxxLj512ELj1EEvPT_PT0_Pj.num_vgpr, 5
	.set _Z25scatter_to_blocked_kernelIxxLj512ELj1EEvPT_PT0_Pj.num_agpr, 0
	.set _Z25scatter_to_blocked_kernelIxxLj512ELj1EEvPT_PT0_Pj.numbered_sgpr, 10
	.set _Z25scatter_to_blocked_kernelIxxLj512ELj1EEvPT_PT0_Pj.num_named_barrier, 0
	.set _Z25scatter_to_blocked_kernelIxxLj512ELj1EEvPT_PT0_Pj.private_seg_size, 0
	.set _Z25scatter_to_blocked_kernelIxxLj512ELj1EEvPT_PT0_Pj.uses_vcc, 0
	.set _Z25scatter_to_blocked_kernelIxxLj512ELj1EEvPT_PT0_Pj.uses_flat_scratch, 0
	.set _Z25scatter_to_blocked_kernelIxxLj512ELj1EEvPT_PT0_Pj.has_dyn_sized_stack, 0
	.set _Z25scatter_to_blocked_kernelIxxLj512ELj1EEvPT_PT0_Pj.has_recursion, 0
	.set _Z25scatter_to_blocked_kernelIxxLj512ELj1EEvPT_PT0_Pj.has_indirect_call, 0
	.section	.AMDGPU.csdata,"",@progbits
; Kernel info:
; codeLenInByte = 188
; TotalNumSgprs: 10
; NumVgprs: 5
; ScratchSize: 0
; MemoryBound: 0
; FloatMode: 240
; IeeeMode: 1
; LDSByteSize: 4096 bytes/workgroup (compile time only)
; SGPRBlocks: 0
; VGPRBlocks: 0
; NumSGPRsForWavesPerEU: 10
; NumVGPRsForWavesPerEU: 5
; NamedBarCnt: 0
; Occupancy: 16
; WaveLimiterHint : 0
; COMPUTE_PGM_RSRC2:SCRATCH_EN: 0
; COMPUTE_PGM_RSRC2:USER_SGPR: 2
; COMPUTE_PGM_RSRC2:TRAP_HANDLER: 0
; COMPUTE_PGM_RSRC2:TGID_X_EN: 1
; COMPUTE_PGM_RSRC2:TGID_Y_EN: 0
; COMPUTE_PGM_RSRC2:TGID_Z_EN: 0
; COMPUTE_PGM_RSRC2:TIDIG_COMP_CNT: 0
	.section	.text._Z25scatter_to_blocked_kernelIs5dummyIiELj256ELj1EEvPT_PT0_Pj,"axG",@progbits,_Z25scatter_to_blocked_kernelIs5dummyIiELj256ELj1EEvPT_PT0_Pj,comdat
	.protected	_Z25scatter_to_blocked_kernelIs5dummyIiELj256ELj1EEvPT_PT0_Pj ; -- Begin function _Z25scatter_to_blocked_kernelIs5dummyIiELj256ELj1EEvPT_PT0_Pj
	.globl	_Z25scatter_to_blocked_kernelIs5dummyIiELj256ELj1EEvPT_PT0_Pj
	.p2align	8
	.type	_Z25scatter_to_blocked_kernelIs5dummyIiELj256ELj1EEvPT_PT0_Pj,@function
_Z25scatter_to_blocked_kernelIs5dummyIiELj256ELj1EEvPT_PT0_Pj: ; @_Z25scatter_to_blocked_kernelIs5dummyIiELj256ELj1EEvPT_PT0_Pj
; %bb.0:
	s_clause 0x1
	s_load_b64 s[2:3], s[0:1], 0x10
	s_load_b128 s[4:7], s[0:1], 0x0
	s_wait_xcnt 0x0
	s_bfe_u32 s0, ttmp6, 0x4000c
	s_and_b32 s1, ttmp6, 15
	s_add_co_i32 s0, s0, 1
	s_getreg_b32 s8, hwreg(HW_REG_IB_STS2, 6, 4)
	s_mul_i32 s0, ttmp9, s0
	v_lshlrev_b32_e32 v3, 1, v0
	s_add_co_i32 s1, s1, s0
	s_cmp_eq_u32 s8, 0
	s_cselect_b32 s0, ttmp9, s1
	s_mov_b32 s1, 0
	s_lshl_b32 s0, s0, 8
	s_delay_alu instid0(SALU_CYCLE_1)
	s_lshl_b64 s[8:9], s[0:1], 2
	s_wait_kmcnt 0x0
	s_add_nc_u64 s[2:3], s[2:3], s[8:9]
	global_load_b32 v1, v0, s[2:3] scale_offset
	s_wait_xcnt 0x0
	s_lshl_b64 s[2:3], s[0:1], 1
	s_lshl_b64 s[0:1], s[0:1], 3
	s_add_nc_u64 s[2:3], s[4:5], s[2:3]
	s_add_nc_u64 s[0:1], s[6:7], s[0:1]
	global_load_u16 v2, v0, s[2:3] scale_offset
	s_wait_loadcnt 0x1
	v_lshlrev_b32_e32 v1, 1, v1
	s_wait_loadcnt 0x0
	ds_store_b16 v1, v2
	s_wait_dscnt 0x0
	s_barrier_signal -1
	s_barrier_wait -1
	ds_load_i16 v1, v3
	s_wait_dscnt 0x0
	v_dual_lshlrev_b32 v3, 1, v1 :: v_dual_add_nc_u32 v2, 1, v1
	global_store_b64 v0, v[2:3], s[0:1] scale_offset
	s_endpgm
	.section	.rodata,"a",@progbits
	.p2align	6, 0x0
	.amdhsa_kernel _Z25scatter_to_blocked_kernelIs5dummyIiELj256ELj1EEvPT_PT0_Pj
		.amdhsa_group_segment_fixed_size 512
		.amdhsa_private_segment_fixed_size 0
		.amdhsa_kernarg_size 24
		.amdhsa_user_sgpr_count 2
		.amdhsa_user_sgpr_dispatch_ptr 0
		.amdhsa_user_sgpr_queue_ptr 0
		.amdhsa_user_sgpr_kernarg_segment_ptr 1
		.amdhsa_user_sgpr_dispatch_id 0
		.amdhsa_user_sgpr_kernarg_preload_length 0
		.amdhsa_user_sgpr_kernarg_preload_offset 0
		.amdhsa_user_sgpr_private_segment_size 0
		.amdhsa_wavefront_size32 1
		.amdhsa_uses_dynamic_stack 0
		.amdhsa_enable_private_segment 0
		.amdhsa_system_sgpr_workgroup_id_x 1
		.amdhsa_system_sgpr_workgroup_id_y 0
		.amdhsa_system_sgpr_workgroup_id_z 0
		.amdhsa_system_sgpr_workgroup_info 0
		.amdhsa_system_vgpr_workitem_id 0
		.amdhsa_next_free_vgpr 4
		.amdhsa_next_free_sgpr 10
		.amdhsa_named_barrier_count 0
		.amdhsa_reserve_vcc 0
		.amdhsa_float_round_mode_32 0
		.amdhsa_float_round_mode_16_64 0
		.amdhsa_float_denorm_mode_32 3
		.amdhsa_float_denorm_mode_16_64 3
		.amdhsa_fp16_overflow 0
		.amdhsa_memory_ordered 1
		.amdhsa_forward_progress 1
		.amdhsa_inst_pref_size 2
		.amdhsa_round_robin_scheduling 0
		.amdhsa_exception_fp_ieee_invalid_op 0
		.amdhsa_exception_fp_denorm_src 0
		.amdhsa_exception_fp_ieee_div_zero 0
		.amdhsa_exception_fp_ieee_overflow 0
		.amdhsa_exception_fp_ieee_underflow 0
		.amdhsa_exception_fp_ieee_inexact 0
		.amdhsa_exception_int_div_zero 0
	.end_amdhsa_kernel
	.section	.text._Z25scatter_to_blocked_kernelIs5dummyIiELj256ELj1EEvPT_PT0_Pj,"axG",@progbits,_Z25scatter_to_blocked_kernelIs5dummyIiELj256ELj1EEvPT_PT0_Pj,comdat
.Lfunc_end88:
	.size	_Z25scatter_to_blocked_kernelIs5dummyIiELj256ELj1EEvPT_PT0_Pj, .Lfunc_end88-_Z25scatter_to_blocked_kernelIs5dummyIiELj256ELj1EEvPT_PT0_Pj
                                        ; -- End function
	.set _Z25scatter_to_blocked_kernelIs5dummyIiELj256ELj1EEvPT_PT0_Pj.num_vgpr, 4
	.set _Z25scatter_to_blocked_kernelIs5dummyIiELj256ELj1EEvPT_PT0_Pj.num_agpr, 0
	.set _Z25scatter_to_blocked_kernelIs5dummyIiELj256ELj1EEvPT_PT0_Pj.numbered_sgpr, 10
	.set _Z25scatter_to_blocked_kernelIs5dummyIiELj256ELj1EEvPT_PT0_Pj.num_named_barrier, 0
	.set _Z25scatter_to_blocked_kernelIs5dummyIiELj256ELj1EEvPT_PT0_Pj.private_seg_size, 0
	.set _Z25scatter_to_blocked_kernelIs5dummyIiELj256ELj1EEvPT_PT0_Pj.uses_vcc, 0
	.set _Z25scatter_to_blocked_kernelIs5dummyIiELj256ELj1EEvPT_PT0_Pj.uses_flat_scratch, 0
	.set _Z25scatter_to_blocked_kernelIs5dummyIiELj256ELj1EEvPT_PT0_Pj.has_dyn_sized_stack, 0
	.set _Z25scatter_to_blocked_kernelIs5dummyIiELj256ELj1EEvPT_PT0_Pj.has_recursion, 0
	.set _Z25scatter_to_blocked_kernelIs5dummyIiELj256ELj1EEvPT_PT0_Pj.has_indirect_call, 0
	.section	.AMDGPU.csdata,"",@progbits
; Kernel info:
; codeLenInByte = 204
; TotalNumSgprs: 10
; NumVgprs: 4
; ScratchSize: 0
; MemoryBound: 0
; FloatMode: 240
; IeeeMode: 1
; LDSByteSize: 512 bytes/workgroup (compile time only)
; SGPRBlocks: 0
; VGPRBlocks: 0
; NumSGPRsForWavesPerEU: 10
; NumVGPRsForWavesPerEU: 4
; NamedBarCnt: 0
; Occupancy: 16
; WaveLimiterHint : 0
; COMPUTE_PGM_RSRC2:SCRATCH_EN: 0
; COMPUTE_PGM_RSRC2:USER_SGPR: 2
; COMPUTE_PGM_RSRC2:TRAP_HANDLER: 0
; COMPUTE_PGM_RSRC2:TGID_X_EN: 1
; COMPUTE_PGM_RSRC2:TGID_Y_EN: 0
; COMPUTE_PGM_RSRC2:TGID_Z_EN: 0
; COMPUTE_PGM_RSRC2:TIDIG_COMP_CNT: 0
	.section	.text._Z25scatter_to_blocked_kernelIyyLj128ELj1EEvPT_PT0_Pj,"axG",@progbits,_Z25scatter_to_blocked_kernelIyyLj128ELj1EEvPT_PT0_Pj,comdat
	.protected	_Z25scatter_to_blocked_kernelIyyLj128ELj1EEvPT_PT0_Pj ; -- Begin function _Z25scatter_to_blocked_kernelIyyLj128ELj1EEvPT_PT0_Pj
	.globl	_Z25scatter_to_blocked_kernelIyyLj128ELj1EEvPT_PT0_Pj
	.p2align	8
	.type	_Z25scatter_to_blocked_kernelIyyLj128ELj1EEvPT_PT0_Pj,@function
_Z25scatter_to_blocked_kernelIyyLj128ELj1EEvPT_PT0_Pj: ; @_Z25scatter_to_blocked_kernelIyyLj128ELj1EEvPT_PT0_Pj
; %bb.0:
	s_clause 0x1
	s_load_b64 s[2:3], s[0:1], 0x10
	s_load_b128 s[4:7], s[0:1], 0x0
	s_wait_xcnt 0x0
	s_bfe_u32 s0, ttmp6, 0x4000c
	s_and_b32 s1, ttmp6, 15
	s_add_co_i32 s0, s0, 1
	s_getreg_b32 s8, hwreg(HW_REG_IB_STS2, 6, 4)
	s_mul_i32 s0, ttmp9, s0
	v_lshlrev_b32_e32 v4, 3, v0
	s_add_co_i32 s1, s1, s0
	s_cmp_eq_u32 s8, 0
	s_cselect_b32 s0, ttmp9, s1
	s_mov_b32 s1, 0
	s_lshl_b32 s0, s0, 7
	s_delay_alu instid0(SALU_CYCLE_1)
	s_lshl_b64 s[8:9], s[0:1], 2
	s_lshl_b64 s[0:1], s[0:1], 3
	s_wait_kmcnt 0x0
	s_add_nc_u64 s[2:3], s[2:3], s[8:9]
	global_load_b32 v1, v0, s[2:3] scale_offset
	s_wait_xcnt 0x0
	s_add_nc_u64 s[2:3], s[4:5], s[0:1]
	s_add_nc_u64 s[0:1], s[6:7], s[0:1]
	global_load_b64 v[2:3], v0, s[2:3] scale_offset
	s_wait_loadcnt 0x1
	v_lshlrev_b32_e32 v1, 3, v1
	s_wait_loadcnt 0x0
	ds_store_b64 v1, v[2:3]
	s_wait_dscnt 0x0
	s_barrier_signal -1
	s_barrier_wait -1
	ds_load_b64 v[2:3], v4
	s_wait_dscnt 0x0
	global_store_b64 v0, v[2:3], s[0:1] scale_offset
	s_endpgm
	.section	.rodata,"a",@progbits
	.p2align	6, 0x0
	.amdhsa_kernel _Z25scatter_to_blocked_kernelIyyLj128ELj1EEvPT_PT0_Pj
		.amdhsa_group_segment_fixed_size 1024
		.amdhsa_private_segment_fixed_size 0
		.amdhsa_kernarg_size 24
		.amdhsa_user_sgpr_count 2
		.amdhsa_user_sgpr_dispatch_ptr 0
		.amdhsa_user_sgpr_queue_ptr 0
		.amdhsa_user_sgpr_kernarg_segment_ptr 1
		.amdhsa_user_sgpr_dispatch_id 0
		.amdhsa_user_sgpr_kernarg_preload_length 0
		.amdhsa_user_sgpr_kernarg_preload_offset 0
		.amdhsa_user_sgpr_private_segment_size 0
		.amdhsa_wavefront_size32 1
		.amdhsa_uses_dynamic_stack 0
		.amdhsa_enable_private_segment 0
		.amdhsa_system_sgpr_workgroup_id_x 1
		.amdhsa_system_sgpr_workgroup_id_y 0
		.amdhsa_system_sgpr_workgroup_id_z 0
		.amdhsa_system_sgpr_workgroup_info 0
		.amdhsa_system_vgpr_workitem_id 0
		.amdhsa_next_free_vgpr 5
		.amdhsa_next_free_sgpr 10
		.amdhsa_named_barrier_count 0
		.amdhsa_reserve_vcc 0
		.amdhsa_float_round_mode_32 0
		.amdhsa_float_round_mode_16_64 0
		.amdhsa_float_denorm_mode_32 3
		.amdhsa_float_denorm_mode_16_64 3
		.amdhsa_fp16_overflow 0
		.amdhsa_memory_ordered 1
		.amdhsa_forward_progress 1
		.amdhsa_inst_pref_size 2
		.amdhsa_round_robin_scheduling 0
		.amdhsa_exception_fp_ieee_invalid_op 0
		.amdhsa_exception_fp_denorm_src 0
		.amdhsa_exception_fp_ieee_div_zero 0
		.amdhsa_exception_fp_ieee_overflow 0
		.amdhsa_exception_fp_ieee_underflow 0
		.amdhsa_exception_fp_ieee_inexact 0
		.amdhsa_exception_int_div_zero 0
	.end_amdhsa_kernel
	.section	.text._Z25scatter_to_blocked_kernelIyyLj128ELj1EEvPT_PT0_Pj,"axG",@progbits,_Z25scatter_to_blocked_kernelIyyLj128ELj1EEvPT_PT0_Pj,comdat
.Lfunc_end89:
	.size	_Z25scatter_to_blocked_kernelIyyLj128ELj1EEvPT_PT0_Pj, .Lfunc_end89-_Z25scatter_to_blocked_kernelIyyLj128ELj1EEvPT_PT0_Pj
                                        ; -- End function
	.set _Z25scatter_to_blocked_kernelIyyLj128ELj1EEvPT_PT0_Pj.num_vgpr, 5
	.set _Z25scatter_to_blocked_kernelIyyLj128ELj1EEvPT_PT0_Pj.num_agpr, 0
	.set _Z25scatter_to_blocked_kernelIyyLj128ELj1EEvPT_PT0_Pj.numbered_sgpr, 10
	.set _Z25scatter_to_blocked_kernelIyyLj128ELj1EEvPT_PT0_Pj.num_named_barrier, 0
	.set _Z25scatter_to_blocked_kernelIyyLj128ELj1EEvPT_PT0_Pj.private_seg_size, 0
	.set _Z25scatter_to_blocked_kernelIyyLj128ELj1EEvPT_PT0_Pj.uses_vcc, 0
	.set _Z25scatter_to_blocked_kernelIyyLj128ELj1EEvPT_PT0_Pj.uses_flat_scratch, 0
	.set _Z25scatter_to_blocked_kernelIyyLj128ELj1EEvPT_PT0_Pj.has_dyn_sized_stack, 0
	.set _Z25scatter_to_blocked_kernelIyyLj128ELj1EEvPT_PT0_Pj.has_recursion, 0
	.set _Z25scatter_to_blocked_kernelIyyLj128ELj1EEvPT_PT0_Pj.has_indirect_call, 0
	.section	.AMDGPU.csdata,"",@progbits
; Kernel info:
; codeLenInByte = 188
; TotalNumSgprs: 10
; NumVgprs: 5
; ScratchSize: 0
; MemoryBound: 0
; FloatMode: 240
; IeeeMode: 1
; LDSByteSize: 1024 bytes/workgroup (compile time only)
; SGPRBlocks: 0
; VGPRBlocks: 0
; NumSGPRsForWavesPerEU: 10
; NumVGPRsForWavesPerEU: 5
; NamedBarCnt: 0
; Occupancy: 16
; WaveLimiterHint : 0
; COMPUTE_PGM_RSRC2:SCRATCH_EN: 0
; COMPUTE_PGM_RSRC2:USER_SGPR: 2
; COMPUTE_PGM_RSRC2:TRAP_HANDLER: 0
; COMPUTE_PGM_RSRC2:TGID_X_EN: 1
; COMPUTE_PGM_RSRC2:TGID_Y_EN: 0
; COMPUTE_PGM_RSRC2:TGID_Z_EN: 0
; COMPUTE_PGM_RSRC2:TIDIG_COMP_CNT: 0
	.section	.text._Z25scatter_to_blocked_kernelIixLj64ELj1EEvPT_PT0_Pj,"axG",@progbits,_Z25scatter_to_blocked_kernelIixLj64ELj1EEvPT_PT0_Pj,comdat
	.protected	_Z25scatter_to_blocked_kernelIixLj64ELj1EEvPT_PT0_Pj ; -- Begin function _Z25scatter_to_blocked_kernelIixLj64ELj1EEvPT_PT0_Pj
	.globl	_Z25scatter_to_blocked_kernelIixLj64ELj1EEvPT_PT0_Pj
	.p2align	8
	.type	_Z25scatter_to_blocked_kernelIixLj64ELj1EEvPT_PT0_Pj,@function
_Z25scatter_to_blocked_kernelIixLj64ELj1EEvPT_PT0_Pj: ; @_Z25scatter_to_blocked_kernelIixLj64ELj1EEvPT_PT0_Pj
; %bb.0:
	s_clause 0x1
	s_load_b64 s[2:3], s[0:1], 0x10
	s_load_b128 s[4:7], s[0:1], 0x0
	s_wait_xcnt 0x0
	s_bfe_u32 s0, ttmp6, 0x4000c
	s_and_b32 s1, ttmp6, 15
	s_add_co_i32 s0, s0, 1
	s_getreg_b32 s8, hwreg(HW_REG_IB_STS2, 6, 4)
	s_mul_i32 s0, ttmp9, s0
	v_lshlrev_b32_e32 v3, 2, v0
	s_add_co_i32 s1, s1, s0
	s_cmp_eq_u32 s8, 0
	s_cselect_b32 s0, ttmp9, s1
	s_mov_b32 s1, 0
	s_lshl_b32 s0, s0, 6
	s_delay_alu instid0(SALU_CYCLE_1)
	s_lshl_b64 s[8:9], s[0:1], 2
	s_lshl_b64 s[0:1], s[0:1], 3
	s_wait_kmcnt 0x0
	s_add_nc_u64 s[2:3], s[2:3], s[8:9]
	s_add_nc_u64 s[0:1], s[6:7], s[0:1]
	global_load_b32 v1, v0, s[2:3] scale_offset
	s_wait_xcnt 0x0
	s_add_nc_u64 s[2:3], s[4:5], s[8:9]
	global_load_b32 v2, v0, s[2:3] scale_offset
	s_wait_loadcnt 0x1
	v_lshlrev_b32_e32 v1, 2, v1
	s_wait_loadcnt 0x0
	ds_store_b32 v1, v2
	s_wait_dscnt 0x0
	s_barrier_signal -1
	s_barrier_wait -1
	ds_load_b32 v2, v3
	s_wait_dscnt 0x0
	v_ashrrev_i32_e32 v3, 31, v2
	global_store_b64 v0, v[2:3], s[0:1] scale_offset
	s_endpgm
	.section	.rodata,"a",@progbits
	.p2align	6, 0x0
	.amdhsa_kernel _Z25scatter_to_blocked_kernelIixLj64ELj1EEvPT_PT0_Pj
		.amdhsa_group_segment_fixed_size 256
		.amdhsa_private_segment_fixed_size 0
		.amdhsa_kernarg_size 24
		.amdhsa_user_sgpr_count 2
		.amdhsa_user_sgpr_dispatch_ptr 0
		.amdhsa_user_sgpr_queue_ptr 0
		.amdhsa_user_sgpr_kernarg_segment_ptr 1
		.amdhsa_user_sgpr_dispatch_id 0
		.amdhsa_user_sgpr_kernarg_preload_length 0
		.amdhsa_user_sgpr_kernarg_preload_offset 0
		.amdhsa_user_sgpr_private_segment_size 0
		.amdhsa_wavefront_size32 1
		.amdhsa_uses_dynamic_stack 0
		.amdhsa_enable_private_segment 0
		.amdhsa_system_sgpr_workgroup_id_x 1
		.amdhsa_system_sgpr_workgroup_id_y 0
		.amdhsa_system_sgpr_workgroup_id_z 0
		.amdhsa_system_sgpr_workgroup_info 0
		.amdhsa_system_vgpr_workitem_id 0
		.amdhsa_next_free_vgpr 4
		.amdhsa_next_free_sgpr 10
		.amdhsa_named_barrier_count 0
		.amdhsa_reserve_vcc 0
		.amdhsa_float_round_mode_32 0
		.amdhsa_float_round_mode_16_64 0
		.amdhsa_float_denorm_mode_32 3
		.amdhsa_float_denorm_mode_16_64 3
		.amdhsa_fp16_overflow 0
		.amdhsa_memory_ordered 1
		.amdhsa_forward_progress 1
		.amdhsa_inst_pref_size 2
		.amdhsa_round_robin_scheduling 0
		.amdhsa_exception_fp_ieee_invalid_op 0
		.amdhsa_exception_fp_denorm_src 0
		.amdhsa_exception_fp_ieee_div_zero 0
		.amdhsa_exception_fp_ieee_overflow 0
		.amdhsa_exception_fp_ieee_underflow 0
		.amdhsa_exception_fp_ieee_inexact 0
		.amdhsa_exception_int_div_zero 0
	.end_amdhsa_kernel
	.section	.text._Z25scatter_to_blocked_kernelIixLj64ELj1EEvPT_PT0_Pj,"axG",@progbits,_Z25scatter_to_blocked_kernelIixLj64ELj1EEvPT_PT0_Pj,comdat
.Lfunc_end90:
	.size	_Z25scatter_to_blocked_kernelIixLj64ELj1EEvPT_PT0_Pj, .Lfunc_end90-_Z25scatter_to_blocked_kernelIixLj64ELj1EEvPT_PT0_Pj
                                        ; -- End function
	.set _Z25scatter_to_blocked_kernelIixLj64ELj1EEvPT_PT0_Pj.num_vgpr, 4
	.set _Z25scatter_to_blocked_kernelIixLj64ELj1EEvPT_PT0_Pj.num_agpr, 0
	.set _Z25scatter_to_blocked_kernelIixLj64ELj1EEvPT_PT0_Pj.numbered_sgpr, 10
	.set _Z25scatter_to_blocked_kernelIixLj64ELj1EEvPT_PT0_Pj.num_named_barrier, 0
	.set _Z25scatter_to_blocked_kernelIixLj64ELj1EEvPT_PT0_Pj.private_seg_size, 0
	.set _Z25scatter_to_blocked_kernelIixLj64ELj1EEvPT_PT0_Pj.uses_vcc, 0
	.set _Z25scatter_to_blocked_kernelIixLj64ELj1EEvPT_PT0_Pj.uses_flat_scratch, 0
	.set _Z25scatter_to_blocked_kernelIixLj64ELj1EEvPT_PT0_Pj.has_dyn_sized_stack, 0
	.set _Z25scatter_to_blocked_kernelIixLj64ELj1EEvPT_PT0_Pj.has_recursion, 0
	.set _Z25scatter_to_blocked_kernelIixLj64ELj1EEvPT_PT0_Pj.has_indirect_call, 0
	.section	.AMDGPU.csdata,"",@progbits
; Kernel info:
; codeLenInByte = 192
; TotalNumSgprs: 10
; NumVgprs: 4
; ScratchSize: 0
; MemoryBound: 0
; FloatMode: 240
; IeeeMode: 1
; LDSByteSize: 256 bytes/workgroup (compile time only)
; SGPRBlocks: 0
; VGPRBlocks: 0
; NumSGPRsForWavesPerEU: 10
; NumVGPRsForWavesPerEU: 4
; NamedBarCnt: 0
; Occupancy: 16
; WaveLimiterHint : 0
; COMPUTE_PGM_RSRC2:SCRATCH_EN: 0
; COMPUTE_PGM_RSRC2:USER_SGPR: 2
; COMPUTE_PGM_RSRC2:TRAP_HANDLER: 0
; COMPUTE_PGM_RSRC2:TGID_X_EN: 1
; COMPUTE_PGM_RSRC2:TGID_Y_EN: 0
; COMPUTE_PGM_RSRC2:TGID_Z_EN: 0
; COMPUTE_PGM_RSRC2:TIDIG_COMP_CNT: 0
	.section	.text._Z25scatter_to_blocked_kernelI6__halfS0_Lj512ELj4EEvPT_PT0_Pj,"axG",@progbits,_Z25scatter_to_blocked_kernelI6__halfS0_Lj512ELj4EEvPT_PT0_Pj,comdat
	.protected	_Z25scatter_to_blocked_kernelI6__halfS0_Lj512ELj4EEvPT_PT0_Pj ; -- Begin function _Z25scatter_to_blocked_kernelI6__halfS0_Lj512ELj4EEvPT_PT0_Pj
	.globl	_Z25scatter_to_blocked_kernelI6__halfS0_Lj512ELj4EEvPT_PT0_Pj
	.p2align	8
	.type	_Z25scatter_to_blocked_kernelI6__halfS0_Lj512ELj4EEvPT_PT0_Pj,@function
_Z25scatter_to_blocked_kernelI6__halfS0_Lj512ELj4EEvPT_PT0_Pj: ; @_Z25scatter_to_blocked_kernelI6__halfS0_Lj512ELj4EEvPT_PT0_Pj
; %bb.0:
	s_load_b64 s[4:5], s[0:1], 0x10
	s_bfe_u32 s2, ttmp6, 0x4000c
	s_and_b32 s3, ttmp6, 15
	s_add_co_i32 s2, s2, 1
	s_getreg_b32 s6, hwreg(HW_REG_IB_STS2, 6, 4)
	s_mul_i32 s2, ttmp9, s2
	s_mov_b32 s7, 0
	s_add_co_i32 s3, s3, s2
	s_cmp_eq_u32 s6, 0
	s_cselect_b32 s2, ttmp9, s3
	s_delay_alu instid0(SALU_CYCLE_1)
	s_lshl_b32 s6, s2, 9
	s_wait_xcnt 0x0
	s_load_b128 s[0:3], s[0:1], 0x0
	s_lshl_b64 s[8:9], s[6:7], 2
	s_wait_kmcnt 0x0
	s_add_nc_u64 s[4:5], s[4:5], s[8:9]
	global_load_b128 v[2:5], v0, s[4:5] scale_offset
	s_wait_xcnt 0x0
	s_lshl_b64 s[4:5], s[6:7], 1
	v_lshrrev_b32_e32 v1, 2, v0
	s_add_nc_u64 s[0:1], s[0:1], s[4:5]
	global_load_b64 v[6:7], v0, s[0:1] scale_offset
	s_wait_xcnt 0x0
	s_add_nc_u64 s[0:1], s[2:3], s[4:5]
	s_wait_loadcnt 0x1
	v_dual_lshrrev_b32 v9, 5, v2 :: v_dual_lshlrev_b32 v2, 1, v2
	v_dual_lshrrev_b32 v8, 5, v3 :: v_dual_lshrrev_b32 v11, 5, v4
	v_dual_lshlrev_b32 v4, 1, v4 :: v_dual_lshlrev_b32 v3, 1, v3
	v_lshrrev_b32_e32 v10, 5, v5
	s_delay_alu instid0(VALU_DEP_4)
	v_and_b32_e32 v9, 0x7fffffe, v9
	v_and_b32_e32 v1, 0x7c, v1
	;; [unrolled: 1-line block ×4, first 2 shown]
	v_lshlrev_b32_e32 v5, 1, v5
	v_and_b32_e32 v10, 0x7fffffe, v10
	v_lshl_add_u32 v2, v9, 1, v2
	v_lshl_add_u32 v1, v0, 3, v1
	;; [unrolled: 1-line block ×5, first 2 shown]
	s_wait_loadcnt 0x0
	ds_store_b16 v2, v6
	ds_store_b16_d16_hi v3, v6
	ds_store_b16 v4, v7
	ds_store_b16_d16_hi v5, v7
	s_wait_dscnt 0x0
	s_barrier_signal -1
	s_barrier_wait -1
	ds_load_2addr_b32 v[2:3], v1 offset1:1
	s_wait_dscnt 0x0
	global_store_b64 v0, v[2:3], s[0:1] scale_offset
	s_endpgm
	.section	.rodata,"a",@progbits
	.p2align	6, 0x0
	.amdhsa_kernel _Z25scatter_to_blocked_kernelI6__halfS0_Lj512ELj4EEvPT_PT0_Pj
		.amdhsa_group_segment_fixed_size 1056
		.amdhsa_private_segment_fixed_size 0
		.amdhsa_kernarg_size 24
		.amdhsa_user_sgpr_count 2
		.amdhsa_user_sgpr_dispatch_ptr 0
		.amdhsa_user_sgpr_queue_ptr 0
		.amdhsa_user_sgpr_kernarg_segment_ptr 1
		.amdhsa_user_sgpr_dispatch_id 0
		.amdhsa_user_sgpr_kernarg_preload_length 0
		.amdhsa_user_sgpr_kernarg_preload_offset 0
		.amdhsa_user_sgpr_private_segment_size 0
		.amdhsa_wavefront_size32 1
		.amdhsa_uses_dynamic_stack 0
		.amdhsa_enable_private_segment 0
		.amdhsa_system_sgpr_workgroup_id_x 1
		.amdhsa_system_sgpr_workgroup_id_y 0
		.amdhsa_system_sgpr_workgroup_id_z 0
		.amdhsa_system_sgpr_workgroup_info 0
		.amdhsa_system_vgpr_workitem_id 0
		.amdhsa_next_free_vgpr 12
		.amdhsa_next_free_sgpr 10
		.amdhsa_named_barrier_count 0
		.amdhsa_reserve_vcc 0
		.amdhsa_float_round_mode_32 0
		.amdhsa_float_round_mode_16_64 0
		.amdhsa_float_denorm_mode_32 3
		.amdhsa_float_denorm_mode_16_64 3
		.amdhsa_fp16_overflow 0
		.amdhsa_memory_ordered 1
		.amdhsa_forward_progress 1
		.amdhsa_inst_pref_size 3
		.amdhsa_round_robin_scheduling 0
		.amdhsa_exception_fp_ieee_invalid_op 0
		.amdhsa_exception_fp_denorm_src 0
		.amdhsa_exception_fp_ieee_div_zero 0
		.amdhsa_exception_fp_ieee_overflow 0
		.amdhsa_exception_fp_ieee_underflow 0
		.amdhsa_exception_fp_ieee_inexact 0
		.amdhsa_exception_int_div_zero 0
	.end_amdhsa_kernel
	.section	.text._Z25scatter_to_blocked_kernelI6__halfS0_Lj512ELj4EEvPT_PT0_Pj,"axG",@progbits,_Z25scatter_to_blocked_kernelI6__halfS0_Lj512ELj4EEvPT_PT0_Pj,comdat
.Lfunc_end91:
	.size	_Z25scatter_to_blocked_kernelI6__halfS0_Lj512ELj4EEvPT_PT0_Pj, .Lfunc_end91-_Z25scatter_to_blocked_kernelI6__halfS0_Lj512ELj4EEvPT_PT0_Pj
                                        ; -- End function
	.set _Z25scatter_to_blocked_kernelI6__halfS0_Lj512ELj4EEvPT_PT0_Pj.num_vgpr, 12
	.set _Z25scatter_to_blocked_kernelI6__halfS0_Lj512ELj4EEvPT_PT0_Pj.num_agpr, 0
	.set _Z25scatter_to_blocked_kernelI6__halfS0_Lj512ELj4EEvPT_PT0_Pj.numbered_sgpr, 10
	.set _Z25scatter_to_blocked_kernelI6__halfS0_Lj512ELj4EEvPT_PT0_Pj.num_named_barrier, 0
	.set _Z25scatter_to_blocked_kernelI6__halfS0_Lj512ELj4EEvPT_PT0_Pj.private_seg_size, 0
	.set _Z25scatter_to_blocked_kernelI6__halfS0_Lj512ELj4EEvPT_PT0_Pj.uses_vcc, 0
	.set _Z25scatter_to_blocked_kernelI6__halfS0_Lj512ELj4EEvPT_PT0_Pj.uses_flat_scratch, 0
	.set _Z25scatter_to_blocked_kernelI6__halfS0_Lj512ELj4EEvPT_PT0_Pj.has_dyn_sized_stack, 0
	.set _Z25scatter_to_blocked_kernelI6__halfS0_Lj512ELj4EEvPT_PT0_Pj.has_recursion, 0
	.set _Z25scatter_to_blocked_kernelI6__halfS0_Lj512ELj4EEvPT_PT0_Pj.has_indirect_call, 0
	.section	.AMDGPU.csdata,"",@progbits
; Kernel info:
; codeLenInByte = 336
; TotalNumSgprs: 10
; NumVgprs: 12
; ScratchSize: 0
; MemoryBound: 0
; FloatMode: 240
; IeeeMode: 1
; LDSByteSize: 1056 bytes/workgroup (compile time only)
; SGPRBlocks: 0
; VGPRBlocks: 0
; NumSGPRsForWavesPerEU: 10
; NumVGPRsForWavesPerEU: 12
; NamedBarCnt: 0
; Occupancy: 16
; WaveLimiterHint : 0
; COMPUTE_PGM_RSRC2:SCRATCH_EN: 0
; COMPUTE_PGM_RSRC2:USER_SGPR: 2
; COMPUTE_PGM_RSRC2:TRAP_HANDLER: 0
; COMPUTE_PGM_RSRC2:TGID_X_EN: 1
; COMPUTE_PGM_RSRC2:TGID_Y_EN: 0
; COMPUTE_PGM_RSRC2:TGID_Z_EN: 0
; COMPUTE_PGM_RSRC2:TIDIG_COMP_CNT: 0
	.section	.text._Z25scatter_to_blocked_kernelI12hip_bfloat16S0_Lj512ELj4EEvPT_PT0_Pj,"axG",@progbits,_Z25scatter_to_blocked_kernelI12hip_bfloat16S0_Lj512ELj4EEvPT_PT0_Pj,comdat
	.protected	_Z25scatter_to_blocked_kernelI12hip_bfloat16S0_Lj512ELj4EEvPT_PT0_Pj ; -- Begin function _Z25scatter_to_blocked_kernelI12hip_bfloat16S0_Lj512ELj4EEvPT_PT0_Pj
	.globl	_Z25scatter_to_blocked_kernelI12hip_bfloat16S0_Lj512ELj4EEvPT_PT0_Pj
	.p2align	8
	.type	_Z25scatter_to_blocked_kernelI12hip_bfloat16S0_Lj512ELj4EEvPT_PT0_Pj,@function
_Z25scatter_to_blocked_kernelI12hip_bfloat16S0_Lj512ELj4EEvPT_PT0_Pj: ; @_Z25scatter_to_blocked_kernelI12hip_bfloat16S0_Lj512ELj4EEvPT_PT0_Pj
; %bb.0:
	s_load_b64 s[4:5], s[0:1], 0x10
	s_bfe_u32 s2, ttmp6, 0x4000c
	s_and_b32 s3, ttmp6, 15
	s_add_co_i32 s2, s2, 1
	s_getreg_b32 s6, hwreg(HW_REG_IB_STS2, 6, 4)
	s_mul_i32 s2, ttmp9, s2
	s_mov_b32 s7, 0
	s_add_co_i32 s3, s3, s2
	s_cmp_eq_u32 s6, 0
	s_cselect_b32 s2, ttmp9, s3
	s_delay_alu instid0(SALU_CYCLE_1)
	s_lshl_b32 s6, s2, 9
	s_wait_xcnt 0x0
	s_load_b128 s[0:3], s[0:1], 0x0
	s_lshl_b64 s[8:9], s[6:7], 2
	s_wait_kmcnt 0x0
	s_add_nc_u64 s[4:5], s[4:5], s[8:9]
	global_load_b128 v[2:5], v0, s[4:5] scale_offset
	s_wait_xcnt 0x0
	s_lshl_b64 s[4:5], s[6:7], 1
	v_lshrrev_b32_e32 v1, 2, v0
	s_add_nc_u64 s[0:1], s[0:1], s[4:5]
	global_load_b64 v[6:7], v0, s[0:1] scale_offset
	s_wait_xcnt 0x0
	s_add_nc_u64 s[0:1], s[2:3], s[4:5]
	s_wait_loadcnt 0x1
	v_dual_lshrrev_b32 v9, 5, v2 :: v_dual_lshlrev_b32 v2, 1, v2
	v_dual_lshrrev_b32 v8, 5, v3 :: v_dual_lshrrev_b32 v11, 5, v4
	v_dual_lshlrev_b32 v4, 1, v4 :: v_dual_lshlrev_b32 v3, 1, v3
	v_lshrrev_b32_e32 v10, 5, v5
	s_delay_alu instid0(VALU_DEP_4)
	v_and_b32_e32 v9, 0x7fffffe, v9
	v_and_b32_e32 v1, 0x7c, v1
	;; [unrolled: 1-line block ×4, first 2 shown]
	v_lshlrev_b32_e32 v5, 1, v5
	v_and_b32_e32 v10, 0x7fffffe, v10
	v_lshl_add_u32 v2, v9, 1, v2
	v_lshl_add_u32 v1, v0, 3, v1
	;; [unrolled: 1-line block ×5, first 2 shown]
	s_wait_loadcnt 0x0
	ds_store_b16 v2, v6
	ds_store_b16_d16_hi v3, v6
	ds_store_b16 v4, v7
	ds_store_b16_d16_hi v5, v7
	s_wait_dscnt 0x0
	s_barrier_signal -1
	s_barrier_wait -1
	ds_load_2addr_b32 v[2:3], v1 offset1:1
	s_wait_dscnt 0x0
	global_store_b64 v0, v[2:3], s[0:1] scale_offset
	s_endpgm
	.section	.rodata,"a",@progbits
	.p2align	6, 0x0
	.amdhsa_kernel _Z25scatter_to_blocked_kernelI12hip_bfloat16S0_Lj512ELj4EEvPT_PT0_Pj
		.amdhsa_group_segment_fixed_size 1056
		.amdhsa_private_segment_fixed_size 0
		.amdhsa_kernarg_size 24
		.amdhsa_user_sgpr_count 2
		.amdhsa_user_sgpr_dispatch_ptr 0
		.amdhsa_user_sgpr_queue_ptr 0
		.amdhsa_user_sgpr_kernarg_segment_ptr 1
		.amdhsa_user_sgpr_dispatch_id 0
		.amdhsa_user_sgpr_kernarg_preload_length 0
		.amdhsa_user_sgpr_kernarg_preload_offset 0
		.amdhsa_user_sgpr_private_segment_size 0
		.amdhsa_wavefront_size32 1
		.amdhsa_uses_dynamic_stack 0
		.amdhsa_enable_private_segment 0
		.amdhsa_system_sgpr_workgroup_id_x 1
		.amdhsa_system_sgpr_workgroup_id_y 0
		.amdhsa_system_sgpr_workgroup_id_z 0
		.amdhsa_system_sgpr_workgroup_info 0
		.amdhsa_system_vgpr_workitem_id 0
		.amdhsa_next_free_vgpr 12
		.amdhsa_next_free_sgpr 10
		.amdhsa_named_barrier_count 0
		.amdhsa_reserve_vcc 0
		.amdhsa_float_round_mode_32 0
		.amdhsa_float_round_mode_16_64 0
		.amdhsa_float_denorm_mode_32 3
		.amdhsa_float_denorm_mode_16_64 3
		.amdhsa_fp16_overflow 0
		.amdhsa_memory_ordered 1
		.amdhsa_forward_progress 1
		.amdhsa_inst_pref_size 3
		.amdhsa_round_robin_scheduling 0
		.amdhsa_exception_fp_ieee_invalid_op 0
		.amdhsa_exception_fp_denorm_src 0
		.amdhsa_exception_fp_ieee_div_zero 0
		.amdhsa_exception_fp_ieee_overflow 0
		.amdhsa_exception_fp_ieee_underflow 0
		.amdhsa_exception_fp_ieee_inexact 0
		.amdhsa_exception_int_div_zero 0
	.end_amdhsa_kernel
	.section	.text._Z25scatter_to_blocked_kernelI12hip_bfloat16S0_Lj512ELj4EEvPT_PT0_Pj,"axG",@progbits,_Z25scatter_to_blocked_kernelI12hip_bfloat16S0_Lj512ELj4EEvPT_PT0_Pj,comdat
.Lfunc_end92:
	.size	_Z25scatter_to_blocked_kernelI12hip_bfloat16S0_Lj512ELj4EEvPT_PT0_Pj, .Lfunc_end92-_Z25scatter_to_blocked_kernelI12hip_bfloat16S0_Lj512ELj4EEvPT_PT0_Pj
                                        ; -- End function
	.set _Z25scatter_to_blocked_kernelI12hip_bfloat16S0_Lj512ELj4EEvPT_PT0_Pj.num_vgpr, 12
	.set _Z25scatter_to_blocked_kernelI12hip_bfloat16S0_Lj512ELj4EEvPT_PT0_Pj.num_agpr, 0
	.set _Z25scatter_to_blocked_kernelI12hip_bfloat16S0_Lj512ELj4EEvPT_PT0_Pj.numbered_sgpr, 10
	.set _Z25scatter_to_blocked_kernelI12hip_bfloat16S0_Lj512ELj4EEvPT_PT0_Pj.num_named_barrier, 0
	.set _Z25scatter_to_blocked_kernelI12hip_bfloat16S0_Lj512ELj4EEvPT_PT0_Pj.private_seg_size, 0
	.set _Z25scatter_to_blocked_kernelI12hip_bfloat16S0_Lj512ELj4EEvPT_PT0_Pj.uses_vcc, 0
	.set _Z25scatter_to_blocked_kernelI12hip_bfloat16S0_Lj512ELj4EEvPT_PT0_Pj.uses_flat_scratch, 0
	.set _Z25scatter_to_blocked_kernelI12hip_bfloat16S0_Lj512ELj4EEvPT_PT0_Pj.has_dyn_sized_stack, 0
	.set _Z25scatter_to_blocked_kernelI12hip_bfloat16S0_Lj512ELj4EEvPT_PT0_Pj.has_recursion, 0
	.set _Z25scatter_to_blocked_kernelI12hip_bfloat16S0_Lj512ELj4EEvPT_PT0_Pj.has_indirect_call, 0
	.section	.AMDGPU.csdata,"",@progbits
; Kernel info:
; codeLenInByte = 336
; TotalNumSgprs: 10
; NumVgprs: 12
; ScratchSize: 0
; MemoryBound: 0
; FloatMode: 240
; IeeeMode: 1
; LDSByteSize: 1056 bytes/workgroup (compile time only)
; SGPRBlocks: 0
; VGPRBlocks: 0
; NumSGPRsForWavesPerEU: 10
; NumVGPRsForWavesPerEU: 12
; NamedBarCnt: 0
; Occupancy: 16
; WaveLimiterHint : 0
; COMPUTE_PGM_RSRC2:SCRATCH_EN: 0
; COMPUTE_PGM_RSRC2:USER_SGPR: 2
; COMPUTE_PGM_RSRC2:TRAP_HANDLER: 0
; COMPUTE_PGM_RSRC2:TGID_X_EN: 1
; COMPUTE_PGM_RSRC2:TGID_Y_EN: 0
; COMPUTE_PGM_RSRC2:TGID_Z_EN: 0
; COMPUTE_PGM_RSRC2:TIDIG_COMP_CNT: 0
	.section	.text._Z25scatter_to_blocked_kernelIfdLj512ELj4EEvPT_PT0_Pj,"axG",@progbits,_Z25scatter_to_blocked_kernelIfdLj512ELj4EEvPT_PT0_Pj,comdat
	.protected	_Z25scatter_to_blocked_kernelIfdLj512ELj4EEvPT_PT0_Pj ; -- Begin function _Z25scatter_to_blocked_kernelIfdLj512ELj4EEvPT_PT0_Pj
	.globl	_Z25scatter_to_blocked_kernelIfdLj512ELj4EEvPT_PT0_Pj
	.p2align	8
	.type	_Z25scatter_to_blocked_kernelIfdLj512ELj4EEvPT_PT0_Pj,@function
_Z25scatter_to_blocked_kernelIfdLj512ELj4EEvPT_PT0_Pj: ; @_Z25scatter_to_blocked_kernelIfdLj512ELj4EEvPT_PT0_Pj
; %bb.0:
	s_load_b64 s[4:5], s[0:1], 0x10
	s_bfe_u32 s2, ttmp6, 0x4000c
	s_and_b32 s3, ttmp6, 15
	s_add_co_i32 s2, s2, 1
	s_getreg_b32 s6, hwreg(HW_REG_IB_STS2, 6, 4)
	s_mul_i32 s2, ttmp9, s2
	v_lshrrev_b32_e32 v13, 1, v0
	s_add_co_i32 s7, s3, s2
	s_cmp_eq_u32 s6, 0
	s_wait_xcnt 0x0
	s_load_b128 s[0:3], s[0:1], 0x0
	s_cselect_b32 s6, ttmp9, s7
	s_mov_b32 s7, 0
	s_lshl_b32 s6, s6, 9
	v_and_b32_e32 v13, 0xfc, v13
	s_lshl_b64 s[8:9], s[6:7], 2
	s_wait_kmcnt 0x0
	s_add_nc_u64 s[4:5], s[4:5], s[8:9]
	global_load_b128 v[2:5], v0, s[4:5] scale_offset
	s_add_nc_u64 s[0:1], s[0:1], s[8:9]
	global_load_b128 v[6:9], v0, s[0:1] scale_offset
	s_wait_xcnt 0x0
	s_lshl_b64 s[0:1], s[6:7], 3
	s_delay_alu instid0(SALU_CYCLE_1) | instskip(SKIP_3) | instid1(VALU_DEP_2)
	s_add_nc_u64 s[0:1], s[2:3], s[0:1]
	s_wait_loadcnt 0x1
	v_dual_lshrrev_b32 v1, 3, v2 :: v_dual_lshrrev_b32 v10, 3, v3
	v_dual_lshrrev_b32 v11, 3, v4 :: v_dual_lshrrev_b32 v12, 3, v5
	v_and_b32_e32 v1, 0x1ffffffc, v1
	s_delay_alu instid0(VALU_DEP_3) | instskip(NEXT) | instid1(VALU_DEP_3)
	v_and_b32_e32 v10, 0x1ffffffc, v10
	v_and_b32_e32 v11, 0x1ffffffc, v11
	s_delay_alu instid0(VALU_DEP_4) | instskip(NEXT) | instid1(VALU_DEP_4)
	v_and_b32_e32 v12, 0x1ffffffc, v12
	v_lshl_add_u32 v1, v2, 2, v1
	s_delay_alu instid0(VALU_DEP_4)
	v_lshl_add_u32 v2, v3, 2, v10
	v_lshl_add_u32 v10, v0, 4, v13
	;; [unrolled: 1-line block ×4, first 2 shown]
	s_wait_loadcnt 0x0
	ds_store_b32 v1, v6
	ds_store_b32 v2, v7
	;; [unrolled: 1-line block ×4, first 2 shown]
	s_wait_dscnt 0x0
	s_barrier_signal -1
	s_barrier_wait -1
	ds_load_2addr_b32 v[4:5], v10 offset1:1
	ds_load_2addr_b32 v[8:9], v10 offset0:2 offset1:3
	v_lshlrev_b32_e32 v0, 5, v0
	s_wait_dscnt 0x1
	v_cvt_f64_f32_e32 v[2:3], v4
	v_cvt_f64_f32_e32 v[4:5], v5
	s_wait_dscnt 0x0
	v_cvt_f64_f32_e32 v[6:7], v8
	v_cvt_f64_f32_e32 v[8:9], v9
	s_clause 0x1
	global_store_b128 v0, v[2:5], s[0:1]
	global_store_b128 v0, v[6:9], s[0:1] offset:16
	s_endpgm
	.section	.rodata,"a",@progbits
	.p2align	6, 0x0
	.amdhsa_kernel _Z25scatter_to_blocked_kernelIfdLj512ELj4EEvPT_PT0_Pj
		.amdhsa_group_segment_fixed_size 2112
		.amdhsa_private_segment_fixed_size 0
		.amdhsa_kernarg_size 24
		.amdhsa_user_sgpr_count 2
		.amdhsa_user_sgpr_dispatch_ptr 0
		.amdhsa_user_sgpr_queue_ptr 0
		.amdhsa_user_sgpr_kernarg_segment_ptr 1
		.amdhsa_user_sgpr_dispatch_id 0
		.amdhsa_user_sgpr_kernarg_preload_length 0
		.amdhsa_user_sgpr_kernarg_preload_offset 0
		.amdhsa_user_sgpr_private_segment_size 0
		.amdhsa_wavefront_size32 1
		.amdhsa_uses_dynamic_stack 0
		.amdhsa_enable_private_segment 0
		.amdhsa_system_sgpr_workgroup_id_x 1
		.amdhsa_system_sgpr_workgroup_id_y 0
		.amdhsa_system_sgpr_workgroup_id_z 0
		.amdhsa_system_sgpr_workgroup_info 0
		.amdhsa_system_vgpr_workitem_id 0
		.amdhsa_next_free_vgpr 14
		.amdhsa_next_free_sgpr 10
		.amdhsa_named_barrier_count 0
		.amdhsa_reserve_vcc 0
		.amdhsa_float_round_mode_32 0
		.amdhsa_float_round_mode_16_64 0
		.amdhsa_float_denorm_mode_32 3
		.amdhsa_float_denorm_mode_16_64 3
		.amdhsa_fp16_overflow 0
		.amdhsa_memory_ordered 1
		.amdhsa_forward_progress 1
		.amdhsa_inst_pref_size 3
		.amdhsa_round_robin_scheduling 0
		.amdhsa_exception_fp_ieee_invalid_op 0
		.amdhsa_exception_fp_denorm_src 0
		.amdhsa_exception_fp_ieee_div_zero 0
		.amdhsa_exception_fp_ieee_overflow 0
		.amdhsa_exception_fp_ieee_underflow 0
		.amdhsa_exception_fp_ieee_inexact 0
		.amdhsa_exception_int_div_zero 0
	.end_amdhsa_kernel
	.section	.text._Z25scatter_to_blocked_kernelIfdLj512ELj4EEvPT_PT0_Pj,"axG",@progbits,_Z25scatter_to_blocked_kernelIfdLj512ELj4EEvPT_PT0_Pj,comdat
.Lfunc_end93:
	.size	_Z25scatter_to_blocked_kernelIfdLj512ELj4EEvPT_PT0_Pj, .Lfunc_end93-_Z25scatter_to_blocked_kernelIfdLj512ELj4EEvPT_PT0_Pj
                                        ; -- End function
	.set _Z25scatter_to_blocked_kernelIfdLj512ELj4EEvPT_PT0_Pj.num_vgpr, 14
	.set _Z25scatter_to_blocked_kernelIfdLj512ELj4EEvPT_PT0_Pj.num_agpr, 0
	.set _Z25scatter_to_blocked_kernelIfdLj512ELj4EEvPT_PT0_Pj.numbered_sgpr, 10
	.set _Z25scatter_to_blocked_kernelIfdLj512ELj4EEvPT_PT0_Pj.num_named_barrier, 0
	.set _Z25scatter_to_blocked_kernelIfdLj512ELj4EEvPT_PT0_Pj.private_seg_size, 0
	.set _Z25scatter_to_blocked_kernelIfdLj512ELj4EEvPT_PT0_Pj.uses_vcc, 0
	.set _Z25scatter_to_blocked_kernelIfdLj512ELj4EEvPT_PT0_Pj.uses_flat_scratch, 0
	.set _Z25scatter_to_blocked_kernelIfdLj512ELj4EEvPT_PT0_Pj.has_dyn_sized_stack, 0
	.set _Z25scatter_to_blocked_kernelIfdLj512ELj4EEvPT_PT0_Pj.has_recursion, 0
	.set _Z25scatter_to_blocked_kernelIfdLj512ELj4EEvPT_PT0_Pj.has_indirect_call, 0
	.section	.AMDGPU.csdata,"",@progbits
; Kernel info:
; codeLenInByte = 368
; TotalNumSgprs: 10
; NumVgprs: 14
; ScratchSize: 0
; MemoryBound: 0
; FloatMode: 240
; IeeeMode: 1
; LDSByteSize: 2112 bytes/workgroup (compile time only)
; SGPRBlocks: 0
; VGPRBlocks: 0
; NumSGPRsForWavesPerEU: 10
; NumVGPRsForWavesPerEU: 14
; NamedBarCnt: 0
; Occupancy: 16
; WaveLimiterHint : 0
; COMPUTE_PGM_RSRC2:SCRATCH_EN: 0
; COMPUTE_PGM_RSRC2:USER_SGPR: 2
; COMPUTE_PGM_RSRC2:TRAP_HANDLER: 0
; COMPUTE_PGM_RSRC2:TGID_X_EN: 1
; COMPUTE_PGM_RSRC2:TGID_Y_EN: 0
; COMPUTE_PGM_RSRC2:TGID_Z_EN: 0
; COMPUTE_PGM_RSRC2:TIDIG_COMP_CNT: 0
	.section	.text._Z25scatter_to_blocked_kernelIiiLj512ELj4EEvPT_PT0_Pj,"axG",@progbits,_Z25scatter_to_blocked_kernelIiiLj512ELj4EEvPT_PT0_Pj,comdat
	.protected	_Z25scatter_to_blocked_kernelIiiLj512ELj4EEvPT_PT0_Pj ; -- Begin function _Z25scatter_to_blocked_kernelIiiLj512ELj4EEvPT_PT0_Pj
	.globl	_Z25scatter_to_blocked_kernelIiiLj512ELj4EEvPT_PT0_Pj
	.p2align	8
	.type	_Z25scatter_to_blocked_kernelIiiLj512ELj4EEvPT_PT0_Pj,@function
_Z25scatter_to_blocked_kernelIiiLj512ELj4EEvPT_PT0_Pj: ; @_Z25scatter_to_blocked_kernelIiiLj512ELj4EEvPT_PT0_Pj
; %bb.0:
	s_load_b64 s[4:5], s[0:1], 0x10
	s_bfe_u32 s2, ttmp6, 0x4000c
	s_and_b32 s3, ttmp6, 15
	s_add_co_i32 s2, s2, 1
	s_getreg_b32 s6, hwreg(HW_REG_IB_STS2, 6, 4)
	s_mul_i32 s2, ttmp9, s2
	v_lshrrev_b32_e32 v13, 1, v0
	s_add_co_i32 s7, s3, s2
	s_cmp_eq_u32 s6, 0
	s_wait_xcnt 0x0
	s_load_b128 s[0:3], s[0:1], 0x0
	s_cselect_b32 s6, ttmp9, s7
	s_mov_b32 s7, 0
	s_lshl_b32 s6, s6, 9
	v_and_b32_e32 v13, 0xfc, v13
	s_lshl_b64 s[6:7], s[6:7], 2
	s_wait_kmcnt 0x0
	s_add_nc_u64 s[4:5], s[4:5], s[6:7]
	global_load_b128 v[2:5], v0, s[4:5] scale_offset
	s_add_nc_u64 s[0:1], s[0:1], s[6:7]
	global_load_b128 v[6:9], v0, s[0:1] scale_offset
	s_wait_xcnt 0x0
	s_add_nc_u64 s[0:1], s[2:3], s[6:7]
	s_wait_loadcnt 0x1
	v_dual_lshrrev_b32 v1, 3, v2 :: v_dual_lshrrev_b32 v10, 3, v3
	v_dual_lshrrev_b32 v11, 3, v4 :: v_dual_lshrrev_b32 v12, 3, v5
	s_delay_alu instid0(VALU_DEP_2) | instskip(NEXT) | instid1(VALU_DEP_3)
	v_and_b32_e32 v1, 0x1ffffffc, v1
	v_and_b32_e32 v10, 0x1ffffffc, v10
	s_delay_alu instid0(VALU_DEP_3) | instskip(NEXT) | instid1(VALU_DEP_4)
	v_and_b32_e32 v11, 0x1ffffffc, v11
	v_and_b32_e32 v12, 0x1ffffffc, v12
	s_delay_alu instid0(VALU_DEP_4) | instskip(NEXT) | instid1(VALU_DEP_4)
	v_lshl_add_u32 v1, v2, 2, v1
	v_lshl_add_u32 v2, v3, 2, v10
	s_delay_alu instid0(VALU_DEP_4) | instskip(NEXT) | instid1(VALU_DEP_4)
	v_lshl_add_u32 v3, v4, 2, v11
	v_lshl_add_u32 v4, v5, 2, v12
	;; [unrolled: 1-line block ×3, first 2 shown]
	s_wait_loadcnt 0x0
	ds_store_b32 v1, v6
	ds_store_b32 v2, v7
	;; [unrolled: 1-line block ×4, first 2 shown]
	s_wait_dscnt 0x0
	s_barrier_signal -1
	s_barrier_wait -1
	ds_load_2addr_b32 v[2:3], v5 offset1:1
	ds_load_2addr_b32 v[4:5], v5 offset0:2 offset1:3
	s_wait_dscnt 0x0
	global_store_b128 v0, v[2:5], s[0:1] scale_offset
	s_endpgm
	.section	.rodata,"a",@progbits
	.p2align	6, 0x0
	.amdhsa_kernel _Z25scatter_to_blocked_kernelIiiLj512ELj4EEvPT_PT0_Pj
		.amdhsa_group_segment_fixed_size 2112
		.amdhsa_private_segment_fixed_size 0
		.amdhsa_kernarg_size 24
		.amdhsa_user_sgpr_count 2
		.amdhsa_user_sgpr_dispatch_ptr 0
		.amdhsa_user_sgpr_queue_ptr 0
		.amdhsa_user_sgpr_kernarg_segment_ptr 1
		.amdhsa_user_sgpr_dispatch_id 0
		.amdhsa_user_sgpr_kernarg_preload_length 0
		.amdhsa_user_sgpr_kernarg_preload_offset 0
		.amdhsa_user_sgpr_private_segment_size 0
		.amdhsa_wavefront_size32 1
		.amdhsa_uses_dynamic_stack 0
		.amdhsa_enable_private_segment 0
		.amdhsa_system_sgpr_workgroup_id_x 1
		.amdhsa_system_sgpr_workgroup_id_y 0
		.amdhsa_system_sgpr_workgroup_id_z 0
		.amdhsa_system_sgpr_workgroup_info 0
		.amdhsa_system_vgpr_workitem_id 0
		.amdhsa_next_free_vgpr 14
		.amdhsa_next_free_sgpr 8
		.amdhsa_named_barrier_count 0
		.amdhsa_reserve_vcc 0
		.amdhsa_float_round_mode_32 0
		.amdhsa_float_round_mode_16_64 0
		.amdhsa_float_denorm_mode_32 3
		.amdhsa_float_denorm_mode_16_64 3
		.amdhsa_fp16_overflow 0
		.amdhsa_memory_ordered 1
		.amdhsa_forward_progress 1
		.amdhsa_inst_pref_size 3
		.amdhsa_round_robin_scheduling 0
		.amdhsa_exception_fp_ieee_invalid_op 0
		.amdhsa_exception_fp_denorm_src 0
		.amdhsa_exception_fp_ieee_div_zero 0
		.amdhsa_exception_fp_ieee_overflow 0
		.amdhsa_exception_fp_ieee_underflow 0
		.amdhsa_exception_fp_ieee_inexact 0
		.amdhsa_exception_int_div_zero 0
	.end_amdhsa_kernel
	.section	.text._Z25scatter_to_blocked_kernelIiiLj512ELj4EEvPT_PT0_Pj,"axG",@progbits,_Z25scatter_to_blocked_kernelIiiLj512ELj4EEvPT_PT0_Pj,comdat
.Lfunc_end94:
	.size	_Z25scatter_to_blocked_kernelIiiLj512ELj4EEvPT_PT0_Pj, .Lfunc_end94-_Z25scatter_to_blocked_kernelIiiLj512ELj4EEvPT_PT0_Pj
                                        ; -- End function
	.set _Z25scatter_to_blocked_kernelIiiLj512ELj4EEvPT_PT0_Pj.num_vgpr, 14
	.set _Z25scatter_to_blocked_kernelIiiLj512ELj4EEvPT_PT0_Pj.num_agpr, 0
	.set _Z25scatter_to_blocked_kernelIiiLj512ELj4EEvPT_PT0_Pj.numbered_sgpr, 8
	.set _Z25scatter_to_blocked_kernelIiiLj512ELj4EEvPT_PT0_Pj.num_named_barrier, 0
	.set _Z25scatter_to_blocked_kernelIiiLj512ELj4EEvPT_PT0_Pj.private_seg_size, 0
	.set _Z25scatter_to_blocked_kernelIiiLj512ELj4EEvPT_PT0_Pj.uses_vcc, 0
	.set _Z25scatter_to_blocked_kernelIiiLj512ELj4EEvPT_PT0_Pj.uses_flat_scratch, 0
	.set _Z25scatter_to_blocked_kernelIiiLj512ELj4EEvPT_PT0_Pj.has_dyn_sized_stack, 0
	.set _Z25scatter_to_blocked_kernelIiiLj512ELj4EEvPT_PT0_Pj.has_recursion, 0
	.set _Z25scatter_to_blocked_kernelIiiLj512ELj4EEvPT_PT0_Pj.has_indirect_call, 0
	.section	.AMDGPU.csdata,"",@progbits
; Kernel info:
; codeLenInByte = 324
; TotalNumSgprs: 8
; NumVgprs: 14
; ScratchSize: 0
; MemoryBound: 0
; FloatMode: 240
; IeeeMode: 1
; LDSByteSize: 2112 bytes/workgroup (compile time only)
; SGPRBlocks: 0
; VGPRBlocks: 0
; NumSGPRsForWavesPerEU: 8
; NumVGPRsForWavesPerEU: 14
; NamedBarCnt: 0
; Occupancy: 16
; WaveLimiterHint : 0
; COMPUTE_PGM_RSRC2:SCRATCH_EN: 0
; COMPUTE_PGM_RSRC2:USER_SGPR: 2
; COMPUTE_PGM_RSRC2:TRAP_HANDLER: 0
; COMPUTE_PGM_RSRC2:TGID_X_EN: 1
; COMPUTE_PGM_RSRC2:TGID_Y_EN: 0
; COMPUTE_PGM_RSRC2:TGID_Z_EN: 0
; COMPUTE_PGM_RSRC2:TIDIG_COMP_CNT: 0
	.section	.text._Z25scatter_to_striped_kernelIsiLj2106ELj9EEvPT_PT0_Pj,"axG",@progbits,_Z25scatter_to_striped_kernelIsiLj2106ELj9EEvPT_PT0_Pj,comdat
	.protected	_Z25scatter_to_striped_kernelIsiLj2106ELj9EEvPT_PT0_Pj ; -- Begin function _Z25scatter_to_striped_kernelIsiLj2106ELj9EEvPT_PT0_Pj
	.globl	_Z25scatter_to_striped_kernelIsiLj2106ELj9EEvPT_PT0_Pj
	.p2align	8
	.type	_Z25scatter_to_striped_kernelIsiLj2106ELj9EEvPT_PT0_Pj,@function
_Z25scatter_to_striped_kernelIsiLj2106ELj9EEvPT_PT0_Pj: ; @_Z25scatter_to_striped_kernelIsiLj2106ELj9EEvPT_PT0_Pj
; %bb.0:
	s_clause 0x1
	s_load_b64 s[2:3], s[0:1], 0x10
	s_load_b128 s[4:7], s[0:1], 0x0
	s_wait_xcnt 0x0
	s_bfe_u32 s0, ttmp6, 0x4000c
	s_and_b32 s1, ttmp6, 15
	s_add_co_i32 s0, s0, 1
	s_getreg_b32 s8, hwreg(HW_REG_IB_STS2, 6, 4)
	s_mul_i32 s0, ttmp9, s0
	v_mul_u32_u24_e32 v14, 9, v0
	s_add_co_i32 s1, s1, s0
	s_cmp_eq_u32 s8, 0
	s_cselect_b32 s0, ttmp9, s1
	s_mov_b32 s1, 0
	s_mulk_i32 s0, 0x83a
	v_dual_lshlrev_b32 v15, 2, v14 :: v_dual_lshlrev_b32 v1, 1, v14
	s_lshl_b64 s[8:9], s[0:1], 2
	s_lshl_b64 s[0:1], s[0:1], 1
	s_wait_kmcnt 0x0
	s_add_nc_u64 s[2:3], s[2:3], s[8:9]
	s_add_nc_u64 s[0:1], s[4:5], s[0:1]
	s_clause 0x2
	global_load_b128 v[2:5], v15, s[2:3]
	global_load_b128 v[6:9], v15, s[2:3] offset:16
	global_load_b32 v16, v14, s[2:3] offset:32 scale_offset
	s_clause 0x1
	global_load_b128 v[10:13], v1, s[0:1]
	global_load_u16 v17, v14, s[0:1] offset:16 scale_offset
	v_lshlrev_b32_e32 v18, 1, v0
	s_wait_xcnt 0x0
	s_add_nc_u64 s[0:1], s[6:7], s[8:9]
	s_wait_loadcnt 0x4
	v_dual_lshlrev_b32 v0, 1, v2 :: v_dual_lshlrev_b32 v1, 1, v3
	v_dual_lshlrev_b32 v2, 1, v4 :: v_dual_lshlrev_b32 v3, 1, v5
	s_wait_loadcnt 0x3
	v_dual_lshlrev_b32 v4, 1, v6 :: v_dual_lshlrev_b32 v5, 1, v7
	v_dual_lshlrev_b32 v6, 1, v8 :: v_dual_lshlrev_b32 v7, 1, v9
	s_wait_loadcnt 0x2
	v_lshlrev_b32_e32 v8, 1, v16
	s_wait_loadcnt 0x1
	ds_store_b16 v0, v10
	ds_store_b16_d16_hi v1, v10
	ds_store_b16 v2, v11
	ds_store_b16_d16_hi v3, v11
	;; [unrolled: 2-line block ×4, first 2 shown]
	s_wait_loadcnt 0x0
	ds_store_b16 v8, v17
	s_wait_dscnt 0x0
	s_barrier_signal -1
	s_barrier_wait -1
	ds_load_i16 v0, v18
	ds_load_i16 v1, v18 offset:468
	ds_load_i16 v2, v18 offset:936
	;; [unrolled: 1-line block ×8, first 2 shown]
	s_wait_dscnt 0x2
	global_store_b128 v15, v[4:7], s[0:1] offset:16
	s_wait_dscnt 0x1
	global_store_b128 v15, v[0:3], s[0:1]
	s_wait_dscnt 0x0
	global_store_b32 v14, v8, s[0:1] offset:32 scale_offset
	s_endpgm
	.section	.rodata,"a",@progbits
	.p2align	6, 0x0
	.amdhsa_kernel _Z25scatter_to_striped_kernelIsiLj2106ELj9EEvPT_PT0_Pj
		.amdhsa_group_segment_fixed_size 4224
		.amdhsa_private_segment_fixed_size 0
		.amdhsa_kernarg_size 24
		.amdhsa_user_sgpr_count 2
		.amdhsa_user_sgpr_dispatch_ptr 0
		.amdhsa_user_sgpr_queue_ptr 0
		.amdhsa_user_sgpr_kernarg_segment_ptr 1
		.amdhsa_user_sgpr_dispatch_id 0
		.amdhsa_user_sgpr_kernarg_preload_length 0
		.amdhsa_user_sgpr_kernarg_preload_offset 0
		.amdhsa_user_sgpr_private_segment_size 0
		.amdhsa_wavefront_size32 1
		.amdhsa_uses_dynamic_stack 0
		.amdhsa_enable_private_segment 0
		.amdhsa_system_sgpr_workgroup_id_x 1
		.amdhsa_system_sgpr_workgroup_id_y 0
		.amdhsa_system_sgpr_workgroup_id_z 0
		.amdhsa_system_sgpr_workgroup_info 0
		.amdhsa_system_vgpr_workitem_id 0
		.amdhsa_next_free_vgpr 19
		.amdhsa_next_free_sgpr 10
		.amdhsa_named_barrier_count 0
		.amdhsa_reserve_vcc 0
		.amdhsa_float_round_mode_32 0
		.amdhsa_float_round_mode_16_64 0
		.amdhsa_float_denorm_mode_32 3
		.amdhsa_float_denorm_mode_16_64 3
		.amdhsa_fp16_overflow 0
		.amdhsa_memory_ordered 1
		.amdhsa_forward_progress 1
		.amdhsa_inst_pref_size 4
		.amdhsa_round_robin_scheduling 0
		.amdhsa_exception_fp_ieee_invalid_op 0
		.amdhsa_exception_fp_denorm_src 0
		.amdhsa_exception_fp_ieee_div_zero 0
		.amdhsa_exception_fp_ieee_overflow 0
		.amdhsa_exception_fp_ieee_underflow 0
		.amdhsa_exception_fp_ieee_inexact 0
		.amdhsa_exception_int_div_zero 0
	.end_amdhsa_kernel
	.section	.text._Z25scatter_to_striped_kernelIsiLj2106ELj9EEvPT_PT0_Pj,"axG",@progbits,_Z25scatter_to_striped_kernelIsiLj2106ELj9EEvPT_PT0_Pj,comdat
.Lfunc_end95:
	.size	_Z25scatter_to_striped_kernelIsiLj2106ELj9EEvPT_PT0_Pj, .Lfunc_end95-_Z25scatter_to_striped_kernelIsiLj2106ELj9EEvPT_PT0_Pj
                                        ; -- End function
	.set _Z25scatter_to_striped_kernelIsiLj2106ELj9EEvPT_PT0_Pj.num_vgpr, 19
	.set _Z25scatter_to_striped_kernelIsiLj2106ELj9EEvPT_PT0_Pj.num_agpr, 0
	.set _Z25scatter_to_striped_kernelIsiLj2106ELj9EEvPT_PT0_Pj.numbered_sgpr, 10
	.set _Z25scatter_to_striped_kernelIsiLj2106ELj9EEvPT_PT0_Pj.num_named_barrier, 0
	.set _Z25scatter_to_striped_kernelIsiLj2106ELj9EEvPT_PT0_Pj.private_seg_size, 0
	.set _Z25scatter_to_striped_kernelIsiLj2106ELj9EEvPT_PT0_Pj.uses_vcc, 0
	.set _Z25scatter_to_striped_kernelIsiLj2106ELj9EEvPT_PT0_Pj.uses_flat_scratch, 0
	.set _Z25scatter_to_striped_kernelIsiLj2106ELj9EEvPT_PT0_Pj.has_dyn_sized_stack, 0
	.set _Z25scatter_to_striped_kernelIsiLj2106ELj9EEvPT_PT0_Pj.has_recursion, 0
	.set _Z25scatter_to_striped_kernelIsiLj2106ELj9EEvPT_PT0_Pj.has_indirect_call, 0
	.section	.AMDGPU.csdata,"",@progbits
; Kernel info:
; codeLenInByte = 464
; TotalNumSgprs: 10
; NumVgprs: 19
; ScratchSize: 0
; MemoryBound: 0
; FloatMode: 240
; IeeeMode: 1
; LDSByteSize: 4224 bytes/workgroup (compile time only)
; SGPRBlocks: 0
; VGPRBlocks: 1
; NumSGPRsForWavesPerEU: 10
; NumVGPRsForWavesPerEU: 19
; NamedBarCnt: 0
; Occupancy: 16
; WaveLimiterHint : 0
; COMPUTE_PGM_RSRC2:SCRATCH_EN: 0
; COMPUTE_PGM_RSRC2:USER_SGPR: 2
; COMPUTE_PGM_RSRC2:TRAP_HANDLER: 0
; COMPUTE_PGM_RSRC2:TGID_X_EN: 1
; COMPUTE_PGM_RSRC2:TGID_Y_EN: 0
; COMPUTE_PGM_RSRC2:TGID_Z_EN: 0
; COMPUTE_PGM_RSRC2:TIDIG_COMP_CNT: 0
	.section	.text._Z25scatter_to_striped_kernelItjLj300ELj3EEvPT_PT0_Pj,"axG",@progbits,_Z25scatter_to_striped_kernelItjLj300ELj3EEvPT_PT0_Pj,comdat
	.protected	_Z25scatter_to_striped_kernelItjLj300ELj3EEvPT_PT0_Pj ; -- Begin function _Z25scatter_to_striped_kernelItjLj300ELj3EEvPT_PT0_Pj
	.globl	_Z25scatter_to_striped_kernelItjLj300ELj3EEvPT_PT0_Pj
	.p2align	8
	.type	_Z25scatter_to_striped_kernelItjLj300ELj3EEvPT_PT0_Pj,@function
_Z25scatter_to_striped_kernelItjLj300ELj3EEvPT_PT0_Pj: ; @_Z25scatter_to_striped_kernelItjLj300ELj3EEvPT_PT0_Pj
; %bb.0:
	s_clause 0x1
	s_load_b64 s[2:3], s[0:1], 0x10
	s_load_b128 s[4:7], s[0:1], 0x0
	s_wait_xcnt 0x0
	s_bfe_u32 s0, ttmp6, 0x4000c
	s_and_b32 s1, ttmp6, 15
	s_add_co_i32 s0, s0, 1
	s_getreg_b32 s8, hwreg(HW_REG_IB_STS2, 6, 4)
	s_mul_i32 s0, ttmp9, s0
	v_mul_u32_u24_e32 v1, 3, v0
	s_add_co_i32 s1, s1, s0
	s_cmp_eq_u32 s8, 0
	s_cselect_b32 s0, ttmp9, s1
	s_mov_b32 s1, 0
	s_mulk_i32 s0, 0x12c
	v_dual_lshlrev_b32 v5, 2, v1 :: v_dual_lshlrev_b32 v6, 1, v1
	s_lshl_b64 s[8:9], s[0:1], 2
	s_lshl_b64 s[0:1], s[0:1], 1
	s_wait_kmcnt 0x0
	s_add_nc_u64 s[2:3], s[2:3], s[8:9]
	s_add_nc_u64 s[0:1], s[4:5], s[0:1]
	global_load_b96 v[2:4], v5, s[2:3]
	s_clause 0x1
	global_load_b32 v7, v6, s[0:1]
	global_load_u16 v8, v1, s[0:1] offset:4 scale_offset
	s_wait_xcnt 0x0
	s_add_nc_u64 s[0:1], s[6:7], s[8:9]
	s_wait_loadcnt 0x2
	v_dual_lshlrev_b32 v1, 1, v2 :: v_dual_lshlrev_b32 v2, 1, v3
	v_lshlrev_b32_e32 v3, 1, v4
	v_lshlrev_b32_e32 v4, 1, v0
	s_wait_loadcnt 0x1
	ds_store_b16 v1, v7
	ds_store_b16_d16_hi v2, v7
	s_wait_loadcnt 0x0
	ds_store_b16 v3, v8
	s_wait_dscnt 0x0
	s_barrier_signal -1
	s_barrier_wait -1
	ds_load_u16 v0, v4
	ds_load_u16 v1, v4 offset:200
	ds_load_u16 v2, v4 offset:400
	s_wait_dscnt 0x0
	global_store_b96 v5, v[0:2], s[0:1]
	s_endpgm
	.section	.rodata,"a",@progbits
	.p2align	6, 0x0
	.amdhsa_kernel _Z25scatter_to_striped_kernelItjLj300ELj3EEvPT_PT0_Pj
		.amdhsa_group_segment_fixed_size 608
		.amdhsa_private_segment_fixed_size 0
		.amdhsa_kernarg_size 24
		.amdhsa_user_sgpr_count 2
		.amdhsa_user_sgpr_dispatch_ptr 0
		.amdhsa_user_sgpr_queue_ptr 0
		.amdhsa_user_sgpr_kernarg_segment_ptr 1
		.amdhsa_user_sgpr_dispatch_id 0
		.amdhsa_user_sgpr_kernarg_preload_length 0
		.amdhsa_user_sgpr_kernarg_preload_offset 0
		.amdhsa_user_sgpr_private_segment_size 0
		.amdhsa_wavefront_size32 1
		.amdhsa_uses_dynamic_stack 0
		.amdhsa_enable_private_segment 0
		.amdhsa_system_sgpr_workgroup_id_x 1
		.amdhsa_system_sgpr_workgroup_id_y 0
		.amdhsa_system_sgpr_workgroup_id_z 0
		.amdhsa_system_sgpr_workgroup_info 0
		.amdhsa_system_vgpr_workitem_id 0
		.amdhsa_next_free_vgpr 9
		.amdhsa_next_free_sgpr 10
		.amdhsa_named_barrier_count 0
		.amdhsa_reserve_vcc 0
		.amdhsa_float_round_mode_32 0
		.amdhsa_float_round_mode_16_64 0
		.amdhsa_float_denorm_mode_32 3
		.amdhsa_float_denorm_mode_16_64 3
		.amdhsa_fp16_overflow 0
		.amdhsa_memory_ordered 1
		.amdhsa_forward_progress 1
		.amdhsa_inst_pref_size 3
		.amdhsa_round_robin_scheduling 0
		.amdhsa_exception_fp_ieee_invalid_op 0
		.amdhsa_exception_fp_denorm_src 0
		.amdhsa_exception_fp_ieee_div_zero 0
		.amdhsa_exception_fp_ieee_overflow 0
		.amdhsa_exception_fp_ieee_underflow 0
		.amdhsa_exception_fp_ieee_inexact 0
		.amdhsa_exception_int_div_zero 0
	.end_amdhsa_kernel
	.section	.text._Z25scatter_to_striped_kernelItjLj300ELj3EEvPT_PT0_Pj,"axG",@progbits,_Z25scatter_to_striped_kernelItjLj300ELj3EEvPT_PT0_Pj,comdat
.Lfunc_end96:
	.size	_Z25scatter_to_striped_kernelItjLj300ELj3EEvPT_PT0_Pj, .Lfunc_end96-_Z25scatter_to_striped_kernelItjLj300ELj3EEvPT_PT0_Pj
                                        ; -- End function
	.set _Z25scatter_to_striped_kernelItjLj300ELj3EEvPT_PT0_Pj.num_vgpr, 9
	.set _Z25scatter_to_striped_kernelItjLj300ELj3EEvPT_PT0_Pj.num_agpr, 0
	.set _Z25scatter_to_striped_kernelItjLj300ELj3EEvPT_PT0_Pj.numbered_sgpr, 10
	.set _Z25scatter_to_striped_kernelItjLj300ELj3EEvPT_PT0_Pj.num_named_barrier, 0
	.set _Z25scatter_to_striped_kernelItjLj300ELj3EEvPT_PT0_Pj.private_seg_size, 0
	.set _Z25scatter_to_striped_kernelItjLj300ELj3EEvPT_PT0_Pj.uses_vcc, 0
	.set _Z25scatter_to_striped_kernelItjLj300ELj3EEvPT_PT0_Pj.uses_flat_scratch, 0
	.set _Z25scatter_to_striped_kernelItjLj300ELj3EEvPT_PT0_Pj.has_dyn_sized_stack, 0
	.set _Z25scatter_to_striped_kernelItjLj300ELj3EEvPT_PT0_Pj.has_recursion, 0
	.set _Z25scatter_to_striped_kernelItjLj300ELj3EEvPT_PT0_Pj.has_indirect_call, 0
	.section	.AMDGPU.csdata,"",@progbits
; Kernel info:
; codeLenInByte = 264
; TotalNumSgprs: 10
; NumVgprs: 9
; ScratchSize: 0
; MemoryBound: 0
; FloatMode: 240
; IeeeMode: 1
; LDSByteSize: 608 bytes/workgroup (compile time only)
; SGPRBlocks: 0
; VGPRBlocks: 0
; NumSGPRsForWavesPerEU: 10
; NumVGPRsForWavesPerEU: 9
; NamedBarCnt: 0
; Occupancy: 16
; WaveLimiterHint : 0
; COMPUTE_PGM_RSRC2:SCRATCH_EN: 0
; COMPUTE_PGM_RSRC2:USER_SGPR: 2
; COMPUTE_PGM_RSRC2:TRAP_HANDLER: 0
; COMPUTE_PGM_RSRC2:TGID_X_EN: 1
; COMPUTE_PGM_RSRC2:TGID_Y_EN: 0
; COMPUTE_PGM_RSRC2:TGID_Z_EN: 0
; COMPUTE_PGM_RSRC2:TIDIG_COMP_CNT: 0
	.section	.text._Z25scatter_to_striped_kernelIc5dummyIdELj928ELj2EEvPT_PT0_Pj,"axG",@progbits,_Z25scatter_to_striped_kernelIc5dummyIdELj928ELj2EEvPT_PT0_Pj,comdat
	.protected	_Z25scatter_to_striped_kernelIc5dummyIdELj928ELj2EEvPT_PT0_Pj ; -- Begin function _Z25scatter_to_striped_kernelIc5dummyIdELj928ELj2EEvPT_PT0_Pj
	.globl	_Z25scatter_to_striped_kernelIc5dummyIdELj928ELj2EEvPT_PT0_Pj
	.p2align	8
	.type	_Z25scatter_to_striped_kernelIc5dummyIdELj928ELj2EEvPT_PT0_Pj,@function
_Z25scatter_to_striped_kernelIc5dummyIdELj928ELj2EEvPT_PT0_Pj: ; @_Z25scatter_to_striped_kernelIc5dummyIdELj928ELj2EEvPT_PT0_Pj
; %bb.0:
	s_clause 0x1
	s_load_b128 s[4:7], s[0:1], 0x0
	s_load_b64 s[2:3], s[0:1], 0x10
	s_wait_xcnt 0x0
	s_bfe_u32 s0, ttmp6, 0x4000c
	s_and_b32 s1, ttmp6, 15
	s_add_co_i32 s0, s0, 1
	s_getreg_b32 s8, hwreg(HW_REG_IB_STS2, 6, 4)
	s_mul_i32 s0, ttmp9, s0
	s_delay_alu instid0(SALU_CYCLE_1) | instskip(SKIP_4) | instid1(SALU_CYCLE_1)
	s_add_co_i32 s1, s1, s0
	s_cmp_eq_u32 s8, 0
	s_cselect_b32 s0, ttmp9, s1
	s_mov_b32 s1, 0
	s_mulk_i32 s0, 0x3a0
	s_lshl_b64 s[8:9], s[0:1], 2
	s_wait_kmcnt 0x0
	s_add_nc_u64 s[4:5], s[4:5], s[0:1]
	s_add_nc_u64 s[2:3], s[2:3], s[8:9]
	s_clause 0x1
	global_load_u16 v1, v0, s[4:5] scale_offset
	global_load_b64 v[2:3], v0, s[2:3] scale_offset
	s_lshl_b64 s[0:1], s[0:1], 4
	s_delay_alu instid0(SALU_CYCLE_1)
	s_add_nc_u64 s[0:1], s[6:7], s[0:1]
	s_wait_loadcnt 0x1
	v_lshrrev_b16 v4, 8, v1
	s_wait_loadcnt 0x0
	ds_store_b8 v2, v1
	ds_store_b8 v3, v4
	s_wait_dscnt 0x0
	s_barrier_signal -1
	s_barrier_wait -1
	ds_load_i8 v1, v0
	ds_load_i8 v2, v0 offset:464
	s_wait_dscnt 0x1
	v_dual_lshlrev_b32 v0, 5, v0 :: v_dual_add_nc_u32 v3, 1, v1
	s_wait_dscnt 0x0
	v_dual_lshlrev_b32 v1, 1, v1 :: v_dual_add_nc_u32 v6, 1, v2
	v_lshlrev_b32_e32 v8, 1, v2
	s_delay_alu instid0(VALU_DEP_3) | instskip(NEXT) | instid1(VALU_DEP_3)
	v_cvt_f64_i32_e32 v[2:3], v3
	v_cvt_f64_i32_e32 v[4:5], v1
	s_delay_alu instid0(VALU_DEP_4) | instskip(NEXT) | instid1(VALU_DEP_4)
	v_cvt_f64_i32_e32 v[6:7], v6
	v_cvt_f64_i32_e32 v[8:9], v8
	s_clause 0x1
	global_store_b128 v0, v[2:5], s[0:1]
	global_store_b128 v0, v[6:9], s[0:1] offset:16
	s_endpgm
	.section	.rodata,"a",@progbits
	.p2align	6, 0x0
	.amdhsa_kernel _Z25scatter_to_striped_kernelIc5dummyIdELj928ELj2EEvPT_PT0_Pj
		.amdhsa_group_segment_fixed_size 960
		.amdhsa_private_segment_fixed_size 0
		.amdhsa_kernarg_size 24
		.amdhsa_user_sgpr_count 2
		.amdhsa_user_sgpr_dispatch_ptr 0
		.amdhsa_user_sgpr_queue_ptr 0
		.amdhsa_user_sgpr_kernarg_segment_ptr 1
		.amdhsa_user_sgpr_dispatch_id 0
		.amdhsa_user_sgpr_kernarg_preload_length 0
		.amdhsa_user_sgpr_kernarg_preload_offset 0
		.amdhsa_user_sgpr_private_segment_size 0
		.amdhsa_wavefront_size32 1
		.amdhsa_uses_dynamic_stack 0
		.amdhsa_enable_private_segment 0
		.amdhsa_system_sgpr_workgroup_id_x 1
		.amdhsa_system_sgpr_workgroup_id_y 0
		.amdhsa_system_sgpr_workgroup_id_z 0
		.amdhsa_system_sgpr_workgroup_info 0
		.amdhsa_system_vgpr_workitem_id 0
		.amdhsa_next_free_vgpr 10
		.amdhsa_next_free_sgpr 10
		.amdhsa_named_barrier_count 0
		.amdhsa_reserve_vcc 0
		.amdhsa_float_round_mode_32 0
		.amdhsa_float_round_mode_16_64 0
		.amdhsa_float_denorm_mode_32 3
		.amdhsa_float_denorm_mode_16_64 3
		.amdhsa_fp16_overflow 0
		.amdhsa_memory_ordered 1
		.amdhsa_forward_progress 1
		.amdhsa_inst_pref_size 3
		.amdhsa_round_robin_scheduling 0
		.amdhsa_exception_fp_ieee_invalid_op 0
		.amdhsa_exception_fp_denorm_src 0
		.amdhsa_exception_fp_ieee_div_zero 0
		.amdhsa_exception_fp_ieee_overflow 0
		.amdhsa_exception_fp_ieee_underflow 0
		.amdhsa_exception_fp_ieee_inexact 0
		.amdhsa_exception_int_div_zero 0
	.end_amdhsa_kernel
	.section	.text._Z25scatter_to_striped_kernelIc5dummyIdELj928ELj2EEvPT_PT0_Pj,"axG",@progbits,_Z25scatter_to_striped_kernelIc5dummyIdELj928ELj2EEvPT_PT0_Pj,comdat
.Lfunc_end97:
	.size	_Z25scatter_to_striped_kernelIc5dummyIdELj928ELj2EEvPT_PT0_Pj, .Lfunc_end97-_Z25scatter_to_striped_kernelIc5dummyIdELj928ELj2EEvPT_PT0_Pj
                                        ; -- End function
	.set _Z25scatter_to_striped_kernelIc5dummyIdELj928ELj2EEvPT_PT0_Pj.num_vgpr, 10
	.set _Z25scatter_to_striped_kernelIc5dummyIdELj928ELj2EEvPT_PT0_Pj.num_agpr, 0
	.set _Z25scatter_to_striped_kernelIc5dummyIdELj928ELj2EEvPT_PT0_Pj.numbered_sgpr, 10
	.set _Z25scatter_to_striped_kernelIc5dummyIdELj928ELj2EEvPT_PT0_Pj.num_named_barrier, 0
	.set _Z25scatter_to_striped_kernelIc5dummyIdELj928ELj2EEvPT_PT0_Pj.private_seg_size, 0
	.set _Z25scatter_to_striped_kernelIc5dummyIdELj928ELj2EEvPT_PT0_Pj.uses_vcc, 0
	.set _Z25scatter_to_striped_kernelIc5dummyIdELj928ELj2EEvPT_PT0_Pj.uses_flat_scratch, 0
	.set _Z25scatter_to_striped_kernelIc5dummyIdELj928ELj2EEvPT_PT0_Pj.has_dyn_sized_stack, 0
	.set _Z25scatter_to_striped_kernelIc5dummyIdELj928ELj2EEvPT_PT0_Pj.has_recursion, 0
	.set _Z25scatter_to_striped_kernelIc5dummyIdELj928ELj2EEvPT_PT0_Pj.has_indirect_call, 0
	.section	.AMDGPU.csdata,"",@progbits
; Kernel info:
; codeLenInByte = 280
; TotalNumSgprs: 10
; NumVgprs: 10
; ScratchSize: 0
; MemoryBound: 0
; FloatMode: 240
; IeeeMode: 1
; LDSByteSize: 960 bytes/workgroup (compile time only)
; SGPRBlocks: 0
; VGPRBlocks: 0
; NumSGPRsForWavesPerEU: 10
; NumVGPRsForWavesPerEU: 10
; NamedBarCnt: 0
; Occupancy: 16
; WaveLimiterHint : 0
; COMPUTE_PGM_RSRC2:SCRATCH_EN: 0
; COMPUTE_PGM_RSRC2:USER_SGPR: 2
; COMPUTE_PGM_RSRC2:TRAP_HANDLER: 0
; COMPUTE_PGM_RSRC2:TGID_X_EN: 1
; COMPUTE_PGM_RSRC2:TGID_Y_EN: 0
; COMPUTE_PGM_RSRC2:TGID_Z_EN: 0
; COMPUTE_PGM_RSRC2:TIDIG_COMP_CNT: 0
	.section	.text._Z25scatter_to_striped_kernelIfiLj165ELj5EEvPT_PT0_Pj,"axG",@progbits,_Z25scatter_to_striped_kernelIfiLj165ELj5EEvPT_PT0_Pj,comdat
	.protected	_Z25scatter_to_striped_kernelIfiLj165ELj5EEvPT_PT0_Pj ; -- Begin function _Z25scatter_to_striped_kernelIfiLj165ELj5EEvPT_PT0_Pj
	.globl	_Z25scatter_to_striped_kernelIfiLj165ELj5EEvPT_PT0_Pj
	.p2align	8
	.type	_Z25scatter_to_striped_kernelIfiLj165ELj5EEvPT_PT0_Pj,@function
_Z25scatter_to_striped_kernelIfiLj165ELj5EEvPT_PT0_Pj: ; @_Z25scatter_to_striped_kernelIfiLj165ELj5EEvPT_PT0_Pj
; %bb.0:
	s_clause 0x1
	s_load_b64 s[2:3], s[0:1], 0x10
	s_load_b128 s[4:7], s[0:1], 0x0
	s_wait_xcnt 0x0
	s_bfe_u32 s0, ttmp6, 0x4000c
	s_and_b32 s1, ttmp6, 15
	s_add_co_i32 s0, s0, 1
	s_getreg_b32 s8, hwreg(HW_REG_IB_STS2, 6, 4)
	s_mul_i32 s0, ttmp9, s0
	v_mul_u32_u24_e32 v10, 5, v0
	s_add_co_i32 s1, s1, s0
	s_cmp_eq_u32 s8, 0
	v_lshlrev_b32_e32 v13, 2, v0
	s_cselect_b32 s0, ttmp9, s1
	s_mov_b32 s1, 0
	s_mulk_i32 s0, 0xa5
	v_lshlrev_b32_e32 v11, 2, v10
	s_lshl_b64 s[0:1], s[0:1], 2
	s_wait_kmcnt 0x0
	s_add_nc_u64 s[2:3], s[2:3], s[0:1]
	s_add_nc_u64 s[4:5], s[4:5], s[0:1]
	s_clause 0x1
	global_load_b128 v[2:5], v11, s[2:3]
	global_load_b32 v1, v10, s[2:3] offset:16 scale_offset
	s_clause 0x1
	global_load_b128 v[6:9], v11, s[4:5]
	global_load_b32 v12, v10, s[4:5] offset:16 scale_offset
	s_add_nc_u64 s[0:1], s[6:7], s[0:1]
	s_wait_loadcnt 0x2
	v_dual_lshlrev_b32 v1, 2, v1 :: v_dual_lshlrev_b32 v0, 2, v2
	v_dual_lshlrev_b32 v2, 2, v3 :: v_dual_lshlrev_b32 v3, 2, v4
	v_lshlrev_b32_e32 v4, 2, v5
	s_wait_loadcnt 0x1
	ds_store_b32 v0, v6
	ds_store_b32 v2, v7
	;; [unrolled: 1-line block ×4, first 2 shown]
	s_wait_loadcnt 0x0
	ds_store_b32 v1, v12
	s_wait_dscnt 0x0
	s_barrier_signal -1
	s_barrier_wait -1
	ds_load_2addr_b32 v[0:1], v13 offset1:33
	ds_load_2addr_b32 v[2:3], v13 offset0:66 offset1:99
	ds_load_b32 v4, v13 offset:528
	s_wait_dscnt 0x2
	v_cvt_i32_f32_e32 v1, v1
	v_cvt_i32_f32_e32 v0, v0
	s_wait_dscnt 0x1
	v_cvt_i32_f32_e32 v3, v3
	v_cvt_i32_f32_e32 v2, v2
	s_wait_dscnt 0x0
	v_cvt_i32_f32_e32 v4, v4
	s_clause 0x1
	global_store_b128 v11, v[0:3], s[0:1]
	global_store_b32 v10, v4, s[0:1] offset:16 scale_offset
	s_endpgm
	.section	.rodata,"a",@progbits
	.p2align	6, 0x0
	.amdhsa_kernel _Z25scatter_to_striped_kernelIfiLj165ELj5EEvPT_PT0_Pj
		.amdhsa_group_segment_fixed_size 672
		.amdhsa_private_segment_fixed_size 0
		.amdhsa_kernarg_size 24
		.amdhsa_user_sgpr_count 2
		.amdhsa_user_sgpr_dispatch_ptr 0
		.amdhsa_user_sgpr_queue_ptr 0
		.amdhsa_user_sgpr_kernarg_segment_ptr 1
		.amdhsa_user_sgpr_dispatch_id 0
		.amdhsa_user_sgpr_kernarg_preload_length 0
		.amdhsa_user_sgpr_kernarg_preload_offset 0
		.amdhsa_user_sgpr_private_segment_size 0
		.amdhsa_wavefront_size32 1
		.amdhsa_uses_dynamic_stack 0
		.amdhsa_enable_private_segment 0
		.amdhsa_system_sgpr_workgroup_id_x 1
		.amdhsa_system_sgpr_workgroup_id_y 0
		.amdhsa_system_sgpr_workgroup_id_z 0
		.amdhsa_system_sgpr_workgroup_info 0
		.amdhsa_system_vgpr_workitem_id 0
		.amdhsa_next_free_vgpr 14
		.amdhsa_next_free_sgpr 9
		.amdhsa_named_barrier_count 0
		.amdhsa_reserve_vcc 0
		.amdhsa_float_round_mode_32 0
		.amdhsa_float_round_mode_16_64 0
		.amdhsa_float_denorm_mode_32 3
		.amdhsa_float_denorm_mode_16_64 3
		.amdhsa_fp16_overflow 0
		.amdhsa_memory_ordered 1
		.amdhsa_forward_progress 1
		.amdhsa_inst_pref_size 3
		.amdhsa_round_robin_scheduling 0
		.amdhsa_exception_fp_ieee_invalid_op 0
		.amdhsa_exception_fp_denorm_src 0
		.amdhsa_exception_fp_ieee_div_zero 0
		.amdhsa_exception_fp_ieee_overflow 0
		.amdhsa_exception_fp_ieee_underflow 0
		.amdhsa_exception_fp_ieee_inexact 0
		.amdhsa_exception_int_div_zero 0
	.end_amdhsa_kernel
	.section	.text._Z25scatter_to_striped_kernelIfiLj165ELj5EEvPT_PT0_Pj,"axG",@progbits,_Z25scatter_to_striped_kernelIfiLj165ELj5EEvPT_PT0_Pj,comdat
.Lfunc_end98:
	.size	_Z25scatter_to_striped_kernelIfiLj165ELj5EEvPT_PT0_Pj, .Lfunc_end98-_Z25scatter_to_striped_kernelIfiLj165ELj5EEvPT_PT0_Pj
                                        ; -- End function
	.set _Z25scatter_to_striped_kernelIfiLj165ELj5EEvPT_PT0_Pj.num_vgpr, 14
	.set _Z25scatter_to_striped_kernelIfiLj165ELj5EEvPT_PT0_Pj.num_agpr, 0
	.set _Z25scatter_to_striped_kernelIfiLj165ELj5EEvPT_PT0_Pj.numbered_sgpr, 9
	.set _Z25scatter_to_striped_kernelIfiLj165ELj5EEvPT_PT0_Pj.num_named_barrier, 0
	.set _Z25scatter_to_striped_kernelIfiLj165ELj5EEvPT_PT0_Pj.private_seg_size, 0
	.set _Z25scatter_to_striped_kernelIfiLj165ELj5EEvPT_PT0_Pj.uses_vcc, 0
	.set _Z25scatter_to_striped_kernelIfiLj165ELj5EEvPT_PT0_Pj.uses_flat_scratch, 0
	.set _Z25scatter_to_striped_kernelIfiLj165ELj5EEvPT_PT0_Pj.has_dyn_sized_stack, 0
	.set _Z25scatter_to_striped_kernelIfiLj165ELj5EEvPT_PT0_Pj.has_recursion, 0
	.set _Z25scatter_to_striped_kernelIfiLj165ELj5EEvPT_PT0_Pj.has_indirect_call, 0
	.section	.AMDGPU.csdata,"",@progbits
; Kernel info:
; codeLenInByte = 336
; TotalNumSgprs: 9
; NumVgprs: 14
; ScratchSize: 0
; MemoryBound: 0
; FloatMode: 240
; IeeeMode: 1
; LDSByteSize: 672 bytes/workgroup (compile time only)
; SGPRBlocks: 0
; VGPRBlocks: 0
; NumSGPRsForWavesPerEU: 9
; NumVGPRsForWavesPerEU: 14
; NamedBarCnt: 0
; Occupancy: 16
; WaveLimiterHint : 0
; COMPUTE_PGM_RSRC2:SCRATCH_EN: 0
; COMPUTE_PGM_RSRC2:USER_SGPR: 2
; COMPUTE_PGM_RSRC2:TRAP_HANDLER: 0
; COMPUTE_PGM_RSRC2:TGID_X_EN: 1
; COMPUTE_PGM_RSRC2:TGID_Y_EN: 0
; COMPUTE_PGM_RSRC2:TGID_Z_EN: 0
; COMPUTE_PGM_RSRC2:TIDIG_COMP_CNT: 0
	.section	.text._Z25scatter_to_striped_kernelIidLj165ELj5EEvPT_PT0_Pj,"axG",@progbits,_Z25scatter_to_striped_kernelIidLj165ELj5EEvPT_PT0_Pj,comdat
	.protected	_Z25scatter_to_striped_kernelIidLj165ELj5EEvPT_PT0_Pj ; -- Begin function _Z25scatter_to_striped_kernelIidLj165ELj5EEvPT_PT0_Pj
	.globl	_Z25scatter_to_striped_kernelIidLj165ELj5EEvPT_PT0_Pj
	.p2align	8
	.type	_Z25scatter_to_striped_kernelIidLj165ELj5EEvPT_PT0_Pj,@function
_Z25scatter_to_striped_kernelIidLj165ELj5EEvPT_PT0_Pj: ; @_Z25scatter_to_striped_kernelIidLj165ELj5EEvPT_PT0_Pj
; %bb.0:
	s_clause 0x1
	s_load_b64 s[2:3], s[0:1], 0x10
	s_load_b128 s[4:7], s[0:1], 0x0
	s_wait_xcnt 0x0
	s_bfe_u32 s0, ttmp6, 0x4000c
	s_and_b32 s1, ttmp6, 15
	s_add_co_i32 s0, s0, 1
	s_getreg_b32 s8, hwreg(HW_REG_IB_STS2, 6, 4)
	s_mul_i32 s0, ttmp9, s0
	v_mul_u32_u24_e32 v10, 5, v0
	s_add_co_i32 s1, s1, s0
	s_cmp_eq_u32 s8, 0
	v_lshlrev_b32_e32 v0, 2, v0
	s_cselect_b32 s0, ttmp9, s1
	s_mov_b32 s1, 0
	s_mulk_i32 s0, 0xa5
	v_lshlrev_b32_e32 v1, 2, v10
	s_lshl_b64 s[8:9], s[0:1], 2
	s_lshl_b64 s[0:1], s[0:1], 3
	s_wait_kmcnt 0x0
	s_add_nc_u64 s[2:3], s[2:3], s[8:9]
	s_add_nc_u64 s[4:5], s[4:5], s[8:9]
	s_clause 0x1
	global_load_b128 v[2:5], v1, s[2:3]
	global_load_b32 v11, v10, s[2:3] offset:16 scale_offset
	s_clause 0x1
	global_load_b128 v[6:9], v1, s[4:5]
	global_load_b32 v12, v10, s[4:5] offset:16 scale_offset
	s_add_nc_u64 s[0:1], s[6:7], s[0:1]
	s_wait_loadcnt 0x3
	s_wait_xcnt 0x1
	v_dual_lshlrev_b32 v1, 2, v2 :: v_dual_lshlrev_b32 v2, 2, v3
	v_dual_lshlrev_b32 v3, 2, v4 :: v_dual_lshlrev_b32 v4, 2, v5
	s_wait_loadcnt 0x2
	v_dual_lshlrev_b32 v5, 2, v11 :: v_dual_lshlrev_b32 v11, 3, v10
	s_wait_loadcnt 0x1
	ds_store_b32 v1, v6
	ds_store_b32 v2, v7
	;; [unrolled: 1-line block ×4, first 2 shown]
	s_wait_loadcnt 0x0
	ds_store_b32 v5, v12
	s_wait_dscnt 0x0
	s_barrier_signal -1
	s_barrier_wait -1
	ds_load_2addr_b32 v[2:3], v0 offset1:33
	ds_load_2addr_b32 v[6:7], v0 offset0:66 offset1:99
	ds_load_b32 v8, v0 offset:528
	s_wait_dscnt 0x2
	v_cvt_f64_i32_e32 v[0:1], v2
	s_wait_dscnt 0x1
	v_cvt_f64_i32_e32 v[4:5], v6
	v_cvt_f64_i32_e32 v[6:7], v7
	;; [unrolled: 1-line block ×3, first 2 shown]
	s_wait_dscnt 0x0
	v_cvt_f64_i32_e32 v[8:9], v8
	s_clause 0x2
	global_store_b128 v11, v[4:7], s[0:1] offset:16
	global_store_b128 v11, v[0:3], s[0:1]
	global_store_b64 v10, v[8:9], s[0:1] offset:32 scale_offset
	s_endpgm
	.section	.rodata,"a",@progbits
	.p2align	6, 0x0
	.amdhsa_kernel _Z25scatter_to_striped_kernelIidLj165ELj5EEvPT_PT0_Pj
		.amdhsa_group_segment_fixed_size 672
		.amdhsa_private_segment_fixed_size 0
		.amdhsa_kernarg_size 24
		.amdhsa_user_sgpr_count 2
		.amdhsa_user_sgpr_dispatch_ptr 0
		.amdhsa_user_sgpr_queue_ptr 0
		.amdhsa_user_sgpr_kernarg_segment_ptr 1
		.amdhsa_user_sgpr_dispatch_id 0
		.amdhsa_user_sgpr_kernarg_preload_length 0
		.amdhsa_user_sgpr_kernarg_preload_offset 0
		.amdhsa_user_sgpr_private_segment_size 0
		.amdhsa_wavefront_size32 1
		.amdhsa_uses_dynamic_stack 0
		.amdhsa_enable_private_segment 0
		.amdhsa_system_sgpr_workgroup_id_x 1
		.amdhsa_system_sgpr_workgroup_id_y 0
		.amdhsa_system_sgpr_workgroup_id_z 0
		.amdhsa_system_sgpr_workgroup_info 0
		.amdhsa_system_vgpr_workitem_id 0
		.amdhsa_next_free_vgpr 13
		.amdhsa_next_free_sgpr 10
		.amdhsa_named_barrier_count 0
		.amdhsa_reserve_vcc 0
		.amdhsa_float_round_mode_32 0
		.amdhsa_float_round_mode_16_64 0
		.amdhsa_float_denorm_mode_32 3
		.amdhsa_float_denorm_mode_16_64 3
		.amdhsa_fp16_overflow 0
		.amdhsa_memory_ordered 1
		.amdhsa_forward_progress 1
		.amdhsa_inst_pref_size 3
		.amdhsa_round_robin_scheduling 0
		.amdhsa_exception_fp_ieee_invalid_op 0
		.amdhsa_exception_fp_denorm_src 0
		.amdhsa_exception_fp_ieee_div_zero 0
		.amdhsa_exception_fp_ieee_overflow 0
		.amdhsa_exception_fp_ieee_underflow 0
		.amdhsa_exception_fp_ieee_inexact 0
		.amdhsa_exception_int_div_zero 0
	.end_amdhsa_kernel
	.section	.text._Z25scatter_to_striped_kernelIidLj165ELj5EEvPT_PT0_Pj,"axG",@progbits,_Z25scatter_to_striped_kernelIidLj165ELj5EEvPT_PT0_Pj,comdat
.Lfunc_end99:
	.size	_Z25scatter_to_striped_kernelIidLj165ELj5EEvPT_PT0_Pj, .Lfunc_end99-_Z25scatter_to_striped_kernelIidLj165ELj5EEvPT_PT0_Pj
                                        ; -- End function
	.set _Z25scatter_to_striped_kernelIidLj165ELj5EEvPT_PT0_Pj.num_vgpr, 13
	.set _Z25scatter_to_striped_kernelIidLj165ELj5EEvPT_PT0_Pj.num_agpr, 0
	.set _Z25scatter_to_striped_kernelIidLj165ELj5EEvPT_PT0_Pj.numbered_sgpr, 10
	.set _Z25scatter_to_striped_kernelIidLj165ELj5EEvPT_PT0_Pj.num_named_barrier, 0
	.set _Z25scatter_to_striped_kernelIidLj165ELj5EEvPT_PT0_Pj.private_seg_size, 0
	.set _Z25scatter_to_striped_kernelIidLj165ELj5EEvPT_PT0_Pj.uses_vcc, 0
	.set _Z25scatter_to_striped_kernelIidLj165ELj5EEvPT_PT0_Pj.uses_flat_scratch, 0
	.set _Z25scatter_to_striped_kernelIidLj165ELj5EEvPT_PT0_Pj.has_dyn_sized_stack, 0
	.set _Z25scatter_to_striped_kernelIidLj165ELj5EEvPT_PT0_Pj.has_recursion, 0
	.set _Z25scatter_to_striped_kernelIidLj165ELj5EEvPT_PT0_Pj.has_indirect_call, 0
	.section	.AMDGPU.csdata,"",@progbits
; Kernel info:
; codeLenInByte = 368
; TotalNumSgprs: 10
; NumVgprs: 13
; ScratchSize: 0
; MemoryBound: 0
; FloatMode: 240
; IeeeMode: 1
; LDSByteSize: 672 bytes/workgroup (compile time only)
; SGPRBlocks: 0
; VGPRBlocks: 0
; NumSGPRsForWavesPerEU: 10
; NumVGPRsForWavesPerEU: 13
; NamedBarCnt: 0
; Occupancy: 16
; WaveLimiterHint : 0
; COMPUTE_PGM_RSRC2:SCRATCH_EN: 0
; COMPUTE_PGM_RSRC2:USER_SGPR: 2
; COMPUTE_PGM_RSRC2:TRAP_HANDLER: 0
; COMPUTE_PGM_RSRC2:TGID_X_EN: 1
; COMPUTE_PGM_RSRC2:TGID_Y_EN: 0
; COMPUTE_PGM_RSRC2:TGID_Z_EN: 0
; COMPUTE_PGM_RSRC2:TIDIG_COMP_CNT: 0
	.section	.text._Z25scatter_to_striped_kernelIyyLj192ELj3EEvPT_PT0_Pj,"axG",@progbits,_Z25scatter_to_striped_kernelIyyLj192ELj3EEvPT_PT0_Pj,comdat
	.protected	_Z25scatter_to_striped_kernelIyyLj192ELj3EEvPT_PT0_Pj ; -- Begin function _Z25scatter_to_striped_kernelIyyLj192ELj3EEvPT_PT0_Pj
	.globl	_Z25scatter_to_striped_kernelIyyLj192ELj3EEvPT_PT0_Pj
	.p2align	8
	.type	_Z25scatter_to_striped_kernelIyyLj192ELj3EEvPT_PT0_Pj,@function
_Z25scatter_to_striped_kernelIyyLj192ELj3EEvPT_PT0_Pj: ; @_Z25scatter_to_striped_kernelIyyLj192ELj3EEvPT_PT0_Pj
; %bb.0:
	s_clause 0x1
	s_load_b64 s[2:3], s[0:1], 0x10
	s_load_b128 s[4:7], s[0:1], 0x0
	s_wait_xcnt 0x0
	s_bfe_u32 s0, ttmp6, 0x4000c
	s_and_b32 s1, ttmp6, 15
	s_add_co_i32 s0, s0, 1
	s_getreg_b32 s8, hwreg(HW_REG_IB_STS2, 6, 4)
	s_mul_i32 s0, ttmp9, s0
	v_mul_u32_u24_e32 v9, 3, v0
	s_add_co_i32 s1, s1, s0
	s_cmp_eq_u32 s8, 0
	s_cselect_b32 s0, ttmp9, s1
	s_mov_b32 s1, 0
	s_mulk_i32 s0, 0xc0
	v_dual_lshlrev_b32 v1, 2, v9 :: v_dual_lshlrev_b32 v12, 3, v9
	s_lshl_b64 s[8:9], s[0:1], 2
	s_lshl_b64 s[0:1], s[0:1], 3
	s_wait_kmcnt 0x0
	s_add_nc_u64 s[2:3], s[2:3], s[8:9]
	global_load_b96 v[6:8], v1, s[2:3]
	s_wait_xcnt 0x0
	s_add_nc_u64 s[2:3], s[4:5], s[0:1]
	s_clause 0x1
	global_load_b128 v[2:5], v12, s[2:3]
	global_load_b64 v[10:11], v9, s[2:3] offset:16 scale_offset
	s_add_nc_u64 s[0:1], s[6:7], s[0:1]
	s_wait_loadcnt 0x2
	v_dual_lshlrev_b32 v1, 3, v6 :: v_dual_lshlrev_b32 v6, 3, v7
	v_lshlrev_b32_e32 v7, 3, v8
	v_lshlrev_b32_e32 v8, 3, v0
	s_wait_loadcnt 0x1
	ds_store_b64 v1, v[2:3]
	ds_store_b64 v6, v[4:5]
	s_wait_loadcnt 0x0
	ds_store_b64 v7, v[10:11]
	s_wait_dscnt 0x0
	s_barrier_signal -1
	s_barrier_wait -1
	ds_load_2addr_stride64_b64 v[0:3], v8 offset1:1
	ds_load_b64 v[4:5], v8 offset:1024
	s_wait_dscnt 0x1
	global_store_b128 v12, v[0:3], s[0:1]
	s_wait_dscnt 0x0
	global_store_b64 v9, v[4:5], s[0:1] offset:16 scale_offset
	s_endpgm
	.section	.rodata,"a",@progbits
	.p2align	6, 0x0
	.amdhsa_kernel _Z25scatter_to_striped_kernelIyyLj192ELj3EEvPT_PT0_Pj
		.amdhsa_group_segment_fixed_size 1536
		.amdhsa_private_segment_fixed_size 0
		.amdhsa_kernarg_size 24
		.amdhsa_user_sgpr_count 2
		.amdhsa_user_sgpr_dispatch_ptr 0
		.amdhsa_user_sgpr_queue_ptr 0
		.amdhsa_user_sgpr_kernarg_segment_ptr 1
		.amdhsa_user_sgpr_dispatch_id 0
		.amdhsa_user_sgpr_kernarg_preload_length 0
		.amdhsa_user_sgpr_kernarg_preload_offset 0
		.amdhsa_user_sgpr_private_segment_size 0
		.amdhsa_wavefront_size32 1
		.amdhsa_uses_dynamic_stack 0
		.amdhsa_enable_private_segment 0
		.amdhsa_system_sgpr_workgroup_id_x 1
		.amdhsa_system_sgpr_workgroup_id_y 0
		.amdhsa_system_sgpr_workgroup_id_z 0
		.amdhsa_system_sgpr_workgroup_info 0
		.amdhsa_system_vgpr_workitem_id 0
		.amdhsa_next_free_vgpr 13
		.amdhsa_next_free_sgpr 10
		.amdhsa_named_barrier_count 0
		.amdhsa_reserve_vcc 0
		.amdhsa_float_round_mode_32 0
		.amdhsa_float_round_mode_16_64 0
		.amdhsa_float_denorm_mode_32 3
		.amdhsa_float_denorm_mode_16_64 3
		.amdhsa_fp16_overflow 0
		.amdhsa_memory_ordered 1
		.amdhsa_forward_progress 1
		.amdhsa_inst_pref_size 3
		.amdhsa_round_robin_scheduling 0
		.amdhsa_exception_fp_ieee_invalid_op 0
		.amdhsa_exception_fp_denorm_src 0
		.amdhsa_exception_fp_ieee_div_zero 0
		.amdhsa_exception_fp_ieee_overflow 0
		.amdhsa_exception_fp_ieee_underflow 0
		.amdhsa_exception_fp_ieee_inexact 0
		.amdhsa_exception_int_div_zero 0
	.end_amdhsa_kernel
	.section	.text._Z25scatter_to_striped_kernelIyyLj192ELj3EEvPT_PT0_Pj,"axG",@progbits,_Z25scatter_to_striped_kernelIyyLj192ELj3EEvPT_PT0_Pj,comdat
.Lfunc_end100:
	.size	_Z25scatter_to_striped_kernelIyyLj192ELj3EEvPT_PT0_Pj, .Lfunc_end100-_Z25scatter_to_striped_kernelIyyLj192ELj3EEvPT_PT0_Pj
                                        ; -- End function
	.set _Z25scatter_to_striped_kernelIyyLj192ELj3EEvPT_PT0_Pj.num_vgpr, 13
	.set _Z25scatter_to_striped_kernelIyyLj192ELj3EEvPT_PT0_Pj.num_agpr, 0
	.set _Z25scatter_to_striped_kernelIyyLj192ELj3EEvPT_PT0_Pj.numbered_sgpr, 10
	.set _Z25scatter_to_striped_kernelIyyLj192ELj3EEvPT_PT0_Pj.num_named_barrier, 0
	.set _Z25scatter_to_striped_kernelIyyLj192ELj3EEvPT_PT0_Pj.private_seg_size, 0
	.set _Z25scatter_to_striped_kernelIyyLj192ELj3EEvPT_PT0_Pj.uses_vcc, 0
	.set _Z25scatter_to_striped_kernelIyyLj192ELj3EEvPT_PT0_Pj.uses_flat_scratch, 0
	.set _Z25scatter_to_striped_kernelIyyLj192ELj3EEvPT_PT0_Pj.has_dyn_sized_stack, 0
	.set _Z25scatter_to_striped_kernelIyyLj192ELj3EEvPT_PT0_Pj.has_recursion, 0
	.set _Z25scatter_to_striped_kernelIyyLj192ELj3EEvPT_PT0_Pj.has_indirect_call, 0
	.section	.AMDGPU.csdata,"",@progbits
; Kernel info:
; codeLenInByte = 272
; TotalNumSgprs: 10
; NumVgprs: 13
; ScratchSize: 0
; MemoryBound: 1
; FloatMode: 240
; IeeeMode: 1
; LDSByteSize: 1536 bytes/workgroup (compile time only)
; SGPRBlocks: 0
; VGPRBlocks: 0
; NumSGPRsForWavesPerEU: 10
; NumVGPRsForWavesPerEU: 13
; NamedBarCnt: 0
; Occupancy: 16
; WaveLimiterHint : 1
; COMPUTE_PGM_RSRC2:SCRATCH_EN: 0
; COMPUTE_PGM_RSRC2:USER_SGPR: 2
; COMPUTE_PGM_RSRC2:TRAP_HANDLER: 0
; COMPUTE_PGM_RSRC2:TGID_X_EN: 1
; COMPUTE_PGM_RSRC2:TGID_Y_EN: 0
; COMPUTE_PGM_RSRC2:TGID_Z_EN: 0
; COMPUTE_PGM_RSRC2:TIDIG_COMP_CNT: 0
	.section	.text._Z25scatter_to_striped_kernelIiiLj384ELj3EEvPT_PT0_Pj,"axG",@progbits,_Z25scatter_to_striped_kernelIiiLj384ELj3EEvPT_PT0_Pj,comdat
	.protected	_Z25scatter_to_striped_kernelIiiLj384ELj3EEvPT_PT0_Pj ; -- Begin function _Z25scatter_to_striped_kernelIiiLj384ELj3EEvPT_PT0_Pj
	.globl	_Z25scatter_to_striped_kernelIiiLj384ELj3EEvPT_PT0_Pj
	.p2align	8
	.type	_Z25scatter_to_striped_kernelIiiLj384ELj3EEvPT_PT0_Pj,@function
_Z25scatter_to_striped_kernelIiiLj384ELj3EEvPT_PT0_Pj: ; @_Z25scatter_to_striped_kernelIiiLj384ELj3EEvPT_PT0_Pj
; %bb.0:
	s_clause 0x1
	s_load_b64 s[2:3], s[0:1], 0x10
	s_load_b128 s[4:7], s[0:1], 0x0
	s_wait_xcnt 0x0
	s_bfe_u32 s0, ttmp6, 0x4000c
	s_and_b32 s1, ttmp6, 15
	s_add_co_i32 s0, s0, 1
	s_getreg_b32 s8, hwreg(HW_REG_IB_STS2, 6, 4)
	s_mul_i32 s0, ttmp9, s0
	v_mul_u32_u24_e32 v1, 3, v0
	s_add_co_i32 s1, s1, s0
	s_cmp_eq_u32 s8, 0
	s_cselect_b32 s0, ttmp9, s1
	s_mov_b32 s1, 0
	s_mulk_i32 s0, 0x180
	v_lshlrev_b32_e32 v5, 2, v1
	s_lshl_b64 s[0:1], s[0:1], 2
	s_wait_kmcnt 0x0
	s_add_nc_u64 s[2:3], s[2:3], s[0:1]
	global_load_b96 v[2:4], v5, s[2:3]
	s_wait_xcnt 0x0
	s_add_nc_u64 s[2:3], s[4:5], s[0:1]
	s_add_nc_u64 s[0:1], s[6:7], s[0:1]
	s_wait_loadcnt 0x0
	v_lshlrev_b32_e32 v1, 2, v2
	global_load_b96 v[6:8], v5, s[2:3]
	v_dual_lshlrev_b32 v2, 2, v3 :: v_dual_lshlrev_b32 v3, 2, v4
	v_lshlrev_b32_e32 v4, 2, v0
	s_wait_loadcnt 0x0
	ds_store_b32 v1, v6
	ds_store_b32 v2, v7
	ds_store_b32 v3, v8
	s_wait_dscnt 0x0
	s_barrier_signal -1
	s_barrier_wait -1
	ds_load_2addr_stride64_b32 v[0:1], v4 offset1:2
	ds_load_b32 v2, v4 offset:1024
	s_wait_dscnt 0x0
	global_store_b96 v5, v[0:2], s[0:1]
	s_endpgm
	.section	.rodata,"a",@progbits
	.p2align	6, 0x0
	.amdhsa_kernel _Z25scatter_to_striped_kernelIiiLj384ELj3EEvPT_PT0_Pj
		.amdhsa_group_segment_fixed_size 1536
		.amdhsa_private_segment_fixed_size 0
		.amdhsa_kernarg_size 24
		.amdhsa_user_sgpr_count 2
		.amdhsa_user_sgpr_dispatch_ptr 0
		.amdhsa_user_sgpr_queue_ptr 0
		.amdhsa_user_sgpr_kernarg_segment_ptr 1
		.amdhsa_user_sgpr_dispatch_id 0
		.amdhsa_user_sgpr_kernarg_preload_length 0
		.amdhsa_user_sgpr_kernarg_preload_offset 0
		.amdhsa_user_sgpr_private_segment_size 0
		.amdhsa_wavefront_size32 1
		.amdhsa_uses_dynamic_stack 0
		.amdhsa_enable_private_segment 0
		.amdhsa_system_sgpr_workgroup_id_x 1
		.amdhsa_system_sgpr_workgroup_id_y 0
		.amdhsa_system_sgpr_workgroup_id_z 0
		.amdhsa_system_sgpr_workgroup_info 0
		.amdhsa_system_vgpr_workitem_id 0
		.amdhsa_next_free_vgpr 9
		.amdhsa_next_free_sgpr 9
		.amdhsa_named_barrier_count 0
		.amdhsa_reserve_vcc 0
		.amdhsa_float_round_mode_32 0
		.amdhsa_float_round_mode_16_64 0
		.amdhsa_float_denorm_mode_32 3
		.amdhsa_float_denorm_mode_16_64 3
		.amdhsa_fp16_overflow 0
		.amdhsa_memory_ordered 1
		.amdhsa_forward_progress 1
		.amdhsa_inst_pref_size 2
		.amdhsa_round_robin_scheduling 0
		.amdhsa_exception_fp_ieee_invalid_op 0
		.amdhsa_exception_fp_denorm_src 0
		.amdhsa_exception_fp_ieee_div_zero 0
		.amdhsa_exception_fp_ieee_overflow 0
		.amdhsa_exception_fp_ieee_underflow 0
		.amdhsa_exception_fp_ieee_inexact 0
		.amdhsa_exception_int_div_zero 0
	.end_amdhsa_kernel
	.section	.text._Z25scatter_to_striped_kernelIiiLj384ELj3EEvPT_PT0_Pj,"axG",@progbits,_Z25scatter_to_striped_kernelIiiLj384ELj3EEvPT_PT0_Pj,comdat
.Lfunc_end101:
	.size	_Z25scatter_to_striped_kernelIiiLj384ELj3EEvPT_PT0_Pj, .Lfunc_end101-_Z25scatter_to_striped_kernelIiiLj384ELj3EEvPT_PT0_Pj
                                        ; -- End function
	.set _Z25scatter_to_striped_kernelIiiLj384ELj3EEvPT_PT0_Pj.num_vgpr, 9
	.set _Z25scatter_to_striped_kernelIiiLj384ELj3EEvPT_PT0_Pj.num_agpr, 0
	.set _Z25scatter_to_striped_kernelIiiLj384ELj3EEvPT_PT0_Pj.numbered_sgpr, 9
	.set _Z25scatter_to_striped_kernelIiiLj384ELj3EEvPT_PT0_Pj.num_named_barrier, 0
	.set _Z25scatter_to_striped_kernelIiiLj384ELj3EEvPT_PT0_Pj.private_seg_size, 0
	.set _Z25scatter_to_striped_kernelIiiLj384ELj3EEvPT_PT0_Pj.uses_vcc, 0
	.set _Z25scatter_to_striped_kernelIiiLj384ELj3EEvPT_PT0_Pj.uses_flat_scratch, 0
	.set _Z25scatter_to_striped_kernelIiiLj384ELj3EEvPT_PT0_Pj.has_dyn_sized_stack, 0
	.set _Z25scatter_to_striped_kernelIiiLj384ELj3EEvPT_PT0_Pj.has_recursion, 0
	.set _Z25scatter_to_striped_kernelIiiLj384ELj3EEvPT_PT0_Pj.has_indirect_call, 0
	.section	.AMDGPU.csdata,"",@progbits
; Kernel info:
; codeLenInByte = 224
; TotalNumSgprs: 9
; NumVgprs: 9
; ScratchSize: 0
; MemoryBound: 0
; FloatMode: 240
; IeeeMode: 1
; LDSByteSize: 1536 bytes/workgroup (compile time only)
; SGPRBlocks: 0
; VGPRBlocks: 0
; NumSGPRsForWavesPerEU: 9
; NumVGPRsForWavesPerEU: 9
; NamedBarCnt: 0
; Occupancy: 16
; WaveLimiterHint : 0
; COMPUTE_PGM_RSRC2:SCRATCH_EN: 0
; COMPUTE_PGM_RSRC2:USER_SGPR: 2
; COMPUTE_PGM_RSRC2:TRAP_HANDLER: 0
; COMPUTE_PGM_RSRC2:TGID_X_EN: 1
; COMPUTE_PGM_RSRC2:TGID_Y_EN: 0
; COMPUTE_PGM_RSRC2:TGID_Z_EN: 0
; COMPUTE_PGM_RSRC2:TIDIG_COMP_CNT: 0
	.section	.text._Z25scatter_to_striped_kernelIs5dummyIfELj896ELj7EEvPT_PT0_Pj,"axG",@progbits,_Z25scatter_to_striped_kernelIs5dummyIfELj896ELj7EEvPT_PT0_Pj,comdat
	.protected	_Z25scatter_to_striped_kernelIs5dummyIfELj896ELj7EEvPT_PT0_Pj ; -- Begin function _Z25scatter_to_striped_kernelIs5dummyIfELj896ELj7EEvPT_PT0_Pj
	.globl	_Z25scatter_to_striped_kernelIs5dummyIfELj896ELj7EEvPT_PT0_Pj
	.p2align	8
	.type	_Z25scatter_to_striped_kernelIs5dummyIfELj896ELj7EEvPT_PT0_Pj,@function
_Z25scatter_to_striped_kernelIs5dummyIfELj896ELj7EEvPT_PT0_Pj: ; @_Z25scatter_to_striped_kernelIs5dummyIfELj896ELj7EEvPT_PT0_Pj
; %bb.0:
	s_clause 0x1
	s_load_b64 s[2:3], s[0:1], 0x10
	s_load_b128 s[4:7], s[0:1], 0x0
	s_wait_xcnt 0x0
	s_bfe_u32 s0, ttmp6, 0x4000c
	s_and_b32 s1, ttmp6, 15
	s_add_co_i32 s0, s0, 1
	s_getreg_b32 s8, hwreg(HW_REG_IB_STS2, 6, 4)
	s_mul_i32 s0, ttmp9, s0
	v_mul_u32_u24_e32 v14, 7, v0
	s_add_co_i32 s1, s1, s0
	s_cmp_eq_u32 s8, 0
	s_cselect_b32 s0, ttmp9, s1
	s_mov_b32 s1, 0
	s_mulk_i32 s0, 0x380
	v_dual_lshlrev_b32 v1, 2, v14 :: v_dual_lshlrev_b32 v9, 1, v14
	s_lshl_b64 s[8:9], s[0:1], 2
	s_wait_kmcnt 0x0
	s_add_nc_u64 s[2:3], s[2:3], s[8:9]
	s_lshl_b64 s[8:9], s[0:1], 1
	s_clause 0x1
	global_load_b128 v[2:5], v1, s[2:3]
	global_load_b96 v[6:8], v1, s[2:3] offset:16
	s_wait_xcnt 0x0
	s_add_nc_u64 s[2:3], s[4:5], s[8:9]
	s_clause 0x1
	global_load_b96 v[10:12], v9, s[2:3]
	global_load_u16 v1, v14, s[2:3] offset:12 scale_offset
	v_lshlrev_b32_e32 v0, 1, v0
	s_lshl_b64 s[0:1], s[0:1], 3
	s_delay_alu instid0(SALU_CYCLE_1)
	s_add_nc_u64 s[0:1], s[6:7], s[0:1]
	s_wait_loadcnt 0x3
	v_dual_lshlrev_b32 v2, 1, v2 :: v_dual_lshlrev_b32 v3, 1, v3
	v_dual_lshlrev_b32 v4, 1, v4 :: v_dual_lshlrev_b32 v5, 1, v5
	s_wait_loadcnt 0x2
	v_dual_lshlrev_b32 v6, 1, v6 :: v_dual_lshlrev_b32 v7, 1, v7
	v_lshlrev_b32_e32 v8, 1, v8
	s_wait_loadcnt 0x1
	ds_store_b16 v2, v10
	ds_store_b16_d16_hi v3, v10
	ds_store_b16 v4, v11
	ds_store_b16_d16_hi v5, v11
	;; [unrolled: 2-line block ×3, first 2 shown]
	s_wait_loadcnt 0x0
	ds_store_b16 v8, v1
	s_wait_dscnt 0x0
	s_barrier_signal -1
	s_barrier_wait -1
	ds_load_i16 v1, v0
	ds_load_i16 v2, v0 offset:256
	ds_load_i16 v3, v0 offset:512
	;; [unrolled: 1-line block ×6, first 2 shown]
	s_wait_dscnt 0x6
	v_dual_lshlrev_b32 v15, 3, v14 :: v_dual_add_nc_u32 v7, 1, v1
	s_wait_dscnt 0x5
	v_dual_lshlrev_b32 v1, 1, v1 :: v_dual_add_nc_u32 v8, 1, v2
	;; [unrolled: 2-line block ×7, first 2 shown]
	v_lshlrev_b32_e32 v20, 1, v0
	v_cvt_f32_i32_e32 v0, v7
	v_cvt_f32_i32_e32 v5, v10
	;; [unrolled: 1-line block ×14, first 2 shown]
	s_clause 0x3
	global_store_b128 v15, v[4:7], s[0:1] offset:16
	global_store_b128 v15, v[8:11], s[0:1] offset:32
	global_store_b128 v15, v[0:3], s[0:1]
	global_store_b64 v14, v[12:13], s[0:1] offset:48 scale_offset
	s_endpgm
	.section	.rodata,"a",@progbits
	.p2align	6, 0x0
	.amdhsa_kernel _Z25scatter_to_striped_kernelIs5dummyIfELj896ELj7EEvPT_PT0_Pj
		.amdhsa_group_segment_fixed_size 1792
		.amdhsa_private_segment_fixed_size 0
		.amdhsa_kernarg_size 24
		.amdhsa_user_sgpr_count 2
		.amdhsa_user_sgpr_dispatch_ptr 0
		.amdhsa_user_sgpr_queue_ptr 0
		.amdhsa_user_sgpr_kernarg_segment_ptr 1
		.amdhsa_user_sgpr_dispatch_id 0
		.amdhsa_user_sgpr_kernarg_preload_length 0
		.amdhsa_user_sgpr_kernarg_preload_offset 0
		.amdhsa_user_sgpr_private_segment_size 0
		.amdhsa_wavefront_size32 1
		.amdhsa_uses_dynamic_stack 0
		.amdhsa_enable_private_segment 0
		.amdhsa_system_sgpr_workgroup_id_x 1
		.amdhsa_system_sgpr_workgroup_id_y 0
		.amdhsa_system_sgpr_workgroup_id_z 0
		.amdhsa_system_sgpr_workgroup_info 0
		.amdhsa_system_vgpr_workitem_id 0
		.amdhsa_next_free_vgpr 21
		.amdhsa_next_free_sgpr 10
		.amdhsa_named_barrier_count 0
		.amdhsa_reserve_vcc 0
		.amdhsa_float_round_mode_32 0
		.amdhsa_float_round_mode_16_64 0
		.amdhsa_float_denorm_mode_32 3
		.amdhsa_float_denorm_mode_16_64 3
		.amdhsa_fp16_overflow 0
		.amdhsa_memory_ordered 1
		.amdhsa_forward_progress 1
		.amdhsa_inst_pref_size 5
		.amdhsa_round_robin_scheduling 0
		.amdhsa_exception_fp_ieee_invalid_op 0
		.amdhsa_exception_fp_denorm_src 0
		.amdhsa_exception_fp_ieee_div_zero 0
		.amdhsa_exception_fp_ieee_overflow 0
		.amdhsa_exception_fp_ieee_underflow 0
		.amdhsa_exception_fp_ieee_inexact 0
		.amdhsa_exception_int_div_zero 0
	.end_amdhsa_kernel
	.section	.text._Z25scatter_to_striped_kernelIs5dummyIfELj896ELj7EEvPT_PT0_Pj,"axG",@progbits,_Z25scatter_to_striped_kernelIs5dummyIfELj896ELj7EEvPT_PT0_Pj,comdat
.Lfunc_end102:
	.size	_Z25scatter_to_striped_kernelIs5dummyIfELj896ELj7EEvPT_PT0_Pj, .Lfunc_end102-_Z25scatter_to_striped_kernelIs5dummyIfELj896ELj7EEvPT_PT0_Pj
                                        ; -- End function
	.set _Z25scatter_to_striped_kernelIs5dummyIfELj896ELj7EEvPT_PT0_Pj.num_vgpr, 21
	.set _Z25scatter_to_striped_kernelIs5dummyIfELj896ELj7EEvPT_PT0_Pj.num_agpr, 0
	.set _Z25scatter_to_striped_kernelIs5dummyIfELj896ELj7EEvPT_PT0_Pj.numbered_sgpr, 10
	.set _Z25scatter_to_striped_kernelIs5dummyIfELj896ELj7EEvPT_PT0_Pj.num_named_barrier, 0
	.set _Z25scatter_to_striped_kernelIs5dummyIfELj896ELj7EEvPT_PT0_Pj.private_seg_size, 0
	.set _Z25scatter_to_striped_kernelIs5dummyIfELj896ELj7EEvPT_PT0_Pj.uses_vcc, 0
	.set _Z25scatter_to_striped_kernelIs5dummyIfELj896ELj7EEvPT_PT0_Pj.uses_flat_scratch, 0
	.set _Z25scatter_to_striped_kernelIs5dummyIfELj896ELj7EEvPT_PT0_Pj.has_dyn_sized_stack, 0
	.set _Z25scatter_to_striped_kernelIs5dummyIfELj896ELj7EEvPT_PT0_Pj.has_recursion, 0
	.set _Z25scatter_to_striped_kernelIs5dummyIfELj896ELj7EEvPT_PT0_Pj.has_indirect_call, 0
	.section	.AMDGPU.csdata,"",@progbits
; Kernel info:
; codeLenInByte = 588
; TotalNumSgprs: 10
; NumVgprs: 21
; ScratchSize: 0
; MemoryBound: 0
; FloatMode: 240
; IeeeMode: 1
; LDSByteSize: 1792 bytes/workgroup (compile time only)
; SGPRBlocks: 0
; VGPRBlocks: 1
; NumSGPRsForWavesPerEU: 10
; NumVGPRsForWavesPerEU: 21
; NamedBarCnt: 0
; Occupancy: 16
; WaveLimiterHint : 0
; COMPUTE_PGM_RSRC2:SCRATCH_EN: 0
; COMPUTE_PGM_RSRC2:USER_SGPR: 2
; COMPUTE_PGM_RSRC2:TRAP_HANDLER: 0
; COMPUTE_PGM_RSRC2:TGID_X_EN: 1
; COMPUTE_PGM_RSRC2:TGID_Y_EN: 0
; COMPUTE_PGM_RSRC2:TGID_Z_EN: 0
; COMPUTE_PGM_RSRC2:TIDIG_COMP_CNT: 0
	.section	.text._Z25scatter_to_striped_kernelIiiLj2560ELj5EEvPT_PT0_Pj,"axG",@progbits,_Z25scatter_to_striped_kernelIiiLj2560ELj5EEvPT_PT0_Pj,comdat
	.protected	_Z25scatter_to_striped_kernelIiiLj2560ELj5EEvPT_PT0_Pj ; -- Begin function _Z25scatter_to_striped_kernelIiiLj2560ELj5EEvPT_PT0_Pj
	.globl	_Z25scatter_to_striped_kernelIiiLj2560ELj5EEvPT_PT0_Pj
	.p2align	8
	.type	_Z25scatter_to_striped_kernelIiiLj2560ELj5EEvPT_PT0_Pj,@function
_Z25scatter_to_striped_kernelIiiLj2560ELj5EEvPT_PT0_Pj: ; @_Z25scatter_to_striped_kernelIiiLj2560ELj5EEvPT_PT0_Pj
; %bb.0:
	s_clause 0x1
	s_load_b64 s[2:3], s[0:1], 0x10
	s_load_b128 s[4:7], s[0:1], 0x0
	s_wait_xcnt 0x0
	s_bfe_u32 s0, ttmp6, 0x4000c
	s_and_b32 s1, ttmp6, 15
	s_add_co_i32 s0, s0, 1
	s_getreg_b32 s8, hwreg(HW_REG_IB_STS2, 6, 4)
	s_mul_i32 s0, ttmp9, s0
	v_mul_u32_u24_e32 v10, 5, v0
	s_add_co_i32 s1, s1, s0
	s_cmp_eq_u32 s8, 0
	v_lshlrev_b32_e32 v13, 2, v0
	s_cselect_b32 s0, ttmp9, s1
	s_mov_b32 s1, 0
	s_mulk_i32 s0, 0xa00
	v_lshlrev_b32_e32 v11, 2, v10
	s_lshl_b64 s[0:1], s[0:1], 2
	s_wait_kmcnt 0x0
	s_add_nc_u64 s[2:3], s[2:3], s[0:1]
	s_add_nc_u64 s[4:5], s[4:5], s[0:1]
	s_clause 0x1
	global_load_b128 v[2:5], v11, s[2:3]
	global_load_b32 v1, v10, s[2:3] offset:16 scale_offset
	s_clause 0x1
	global_load_b128 v[6:9], v11, s[4:5]
	global_load_b32 v12, v10, s[4:5] offset:16 scale_offset
	s_add_nc_u64 s[0:1], s[6:7], s[0:1]
	s_wait_loadcnt 0x2
	v_dual_lshlrev_b32 v1, 2, v1 :: v_dual_lshlrev_b32 v0, 2, v2
	v_dual_lshlrev_b32 v2, 2, v3 :: v_dual_lshlrev_b32 v3, 2, v4
	v_lshlrev_b32_e32 v4, 2, v5
	s_wait_loadcnt 0x1
	ds_store_b32 v0, v6
	ds_store_b32 v2, v7
	;; [unrolled: 1-line block ×4, first 2 shown]
	s_wait_loadcnt 0x0
	ds_store_b32 v1, v12
	s_wait_dscnt 0x0
	s_barrier_signal -1
	s_barrier_wait -1
	ds_load_2addr_stride64_b32 v[0:1], v13 offset1:8
	ds_load_2addr_stride64_b32 v[2:3], v13 offset0:16 offset1:24
	ds_load_b32 v4, v13 offset:8192
	s_wait_dscnt 0x1
	global_store_b128 v11, v[0:3], s[0:1]
	s_wait_dscnt 0x0
	global_store_b32 v10, v4, s[0:1] offset:16 scale_offset
	s_endpgm
	.section	.rodata,"a",@progbits
	.p2align	6, 0x0
	.amdhsa_kernel _Z25scatter_to_striped_kernelIiiLj2560ELj5EEvPT_PT0_Pj
		.amdhsa_group_segment_fixed_size 10240
		.amdhsa_private_segment_fixed_size 0
		.amdhsa_kernarg_size 24
		.amdhsa_user_sgpr_count 2
		.amdhsa_user_sgpr_dispatch_ptr 0
		.amdhsa_user_sgpr_queue_ptr 0
		.amdhsa_user_sgpr_kernarg_segment_ptr 1
		.amdhsa_user_sgpr_dispatch_id 0
		.amdhsa_user_sgpr_kernarg_preload_length 0
		.amdhsa_user_sgpr_kernarg_preload_offset 0
		.amdhsa_user_sgpr_private_segment_size 0
		.amdhsa_wavefront_size32 1
		.amdhsa_uses_dynamic_stack 0
		.amdhsa_enable_private_segment 0
		.amdhsa_system_sgpr_workgroup_id_x 1
		.amdhsa_system_sgpr_workgroup_id_y 0
		.amdhsa_system_sgpr_workgroup_id_z 0
		.amdhsa_system_sgpr_workgroup_info 0
		.amdhsa_system_vgpr_workitem_id 0
		.amdhsa_next_free_vgpr 14
		.amdhsa_next_free_sgpr 9
		.amdhsa_named_barrier_count 0
		.amdhsa_reserve_vcc 0
		.amdhsa_float_round_mode_32 0
		.amdhsa_float_round_mode_16_64 0
		.amdhsa_float_denorm_mode_32 3
		.amdhsa_float_denorm_mode_16_64 3
		.amdhsa_fp16_overflow 0
		.amdhsa_memory_ordered 1
		.amdhsa_forward_progress 1
		.amdhsa_inst_pref_size 3
		.amdhsa_round_robin_scheduling 0
		.amdhsa_exception_fp_ieee_invalid_op 0
		.amdhsa_exception_fp_denorm_src 0
		.amdhsa_exception_fp_ieee_div_zero 0
		.amdhsa_exception_fp_ieee_overflow 0
		.amdhsa_exception_fp_ieee_underflow 0
		.amdhsa_exception_fp_ieee_inexact 0
		.amdhsa_exception_int_div_zero 0
	.end_amdhsa_kernel
	.section	.text._Z25scatter_to_striped_kernelIiiLj2560ELj5EEvPT_PT0_Pj,"axG",@progbits,_Z25scatter_to_striped_kernelIiiLj2560ELj5EEvPT_PT0_Pj,comdat
.Lfunc_end103:
	.size	_Z25scatter_to_striped_kernelIiiLj2560ELj5EEvPT_PT0_Pj, .Lfunc_end103-_Z25scatter_to_striped_kernelIiiLj2560ELj5EEvPT_PT0_Pj
                                        ; -- End function
	.set _Z25scatter_to_striped_kernelIiiLj2560ELj5EEvPT_PT0_Pj.num_vgpr, 14
	.set _Z25scatter_to_striped_kernelIiiLj2560ELj5EEvPT_PT0_Pj.num_agpr, 0
	.set _Z25scatter_to_striped_kernelIiiLj2560ELj5EEvPT_PT0_Pj.numbered_sgpr, 9
	.set _Z25scatter_to_striped_kernelIiiLj2560ELj5EEvPT_PT0_Pj.num_named_barrier, 0
	.set _Z25scatter_to_striped_kernelIiiLj2560ELj5EEvPT_PT0_Pj.private_seg_size, 0
	.set _Z25scatter_to_striped_kernelIiiLj2560ELj5EEvPT_PT0_Pj.uses_vcc, 0
	.set _Z25scatter_to_striped_kernelIiiLj2560ELj5EEvPT_PT0_Pj.uses_flat_scratch, 0
	.set _Z25scatter_to_striped_kernelIiiLj2560ELj5EEvPT_PT0_Pj.has_dyn_sized_stack, 0
	.set _Z25scatter_to_striped_kernelIiiLj2560ELj5EEvPT_PT0_Pj.has_recursion, 0
	.set _Z25scatter_to_striped_kernelIiiLj2560ELj5EEvPT_PT0_Pj.has_indirect_call, 0
	.section	.AMDGPU.csdata,"",@progbits
; Kernel info:
; codeLenInByte = 308
; TotalNumSgprs: 9
; NumVgprs: 14
; ScratchSize: 0
; MemoryBound: 0
; FloatMode: 240
; IeeeMode: 1
; LDSByteSize: 10240 bytes/workgroup (compile time only)
; SGPRBlocks: 0
; VGPRBlocks: 0
; NumSGPRsForWavesPerEU: 9
; NumVGPRsForWavesPerEU: 14
; NamedBarCnt: 0
; Occupancy: 16
; WaveLimiterHint : 0
; COMPUTE_PGM_RSRC2:SCRATCH_EN: 0
; COMPUTE_PGM_RSRC2:USER_SGPR: 2
; COMPUTE_PGM_RSRC2:TRAP_HANDLER: 0
; COMPUTE_PGM_RSRC2:TGID_X_EN: 1
; COMPUTE_PGM_RSRC2:TGID_Y_EN: 0
; COMPUTE_PGM_RSRC2:TGID_Z_EN: 0
; COMPUTE_PGM_RSRC2:TIDIG_COMP_CNT: 0
	.section	.text._Z25scatter_to_striped_kernelIxxLj1024ELj4EEvPT_PT0_Pj,"axG",@progbits,_Z25scatter_to_striped_kernelIxxLj1024ELj4EEvPT_PT0_Pj,comdat
	.protected	_Z25scatter_to_striped_kernelIxxLj1024ELj4EEvPT_PT0_Pj ; -- Begin function _Z25scatter_to_striped_kernelIxxLj1024ELj4EEvPT_PT0_Pj
	.globl	_Z25scatter_to_striped_kernelIxxLj1024ELj4EEvPT_PT0_Pj
	.p2align	8
	.type	_Z25scatter_to_striped_kernelIxxLj1024ELj4EEvPT_PT0_Pj,@function
_Z25scatter_to_striped_kernelIxxLj1024ELj4EEvPT_PT0_Pj: ; @_Z25scatter_to_striped_kernelIxxLj1024ELj4EEvPT_PT0_Pj
; %bb.0:
	s_clause 0x1
	s_load_b64 s[2:3], s[0:1], 0x10
	s_load_b128 s[4:7], s[0:1], 0x0
	s_wait_xcnt 0x0
	s_bfe_u32 s0, ttmp6, 0x4000c
	s_and_b32 s1, ttmp6, 15
	s_add_co_i32 s0, s0, 1
	s_getreg_b32 s8, hwreg(HW_REG_IB_STS2, 6, 4)
	s_mul_i32 s0, ttmp9, s0
	s_delay_alu instid0(SALU_CYCLE_1) | instskip(SKIP_4) | instid1(SALU_CYCLE_1)
	s_add_co_i32 s1, s1, s0
	s_cmp_eq_u32 s8, 0
	s_cselect_b32 s0, ttmp9, s1
	s_mov_b32 s1, 0
	s_lshl_b32 s0, s0, 10
	s_lshl_b64 s[8:9], s[0:1], 2
	s_lshl_b64 s[0:1], s[0:1], 3
	s_wait_kmcnt 0x0
	s_add_nc_u64 s[2:3], s[2:3], s[8:9]
	global_load_b128 v[2:5], v0, s[2:3] scale_offset
	v_lshlrev_b32_e32 v14, 5, v0
	s_wait_xcnt 0x0
	s_add_nc_u64 s[2:3], s[4:5], s[0:1]
	s_add_nc_u64 s[0:1], s[6:7], s[0:1]
	s_wait_loadcnt 0x0
	v_lshlrev_b32_e32 v1, 3, v2
	s_clause 0x1
	global_load_b128 v[6:9], v14, s[2:3]
	global_load_b128 v[10:13], v14, s[2:3] offset:16
	v_dual_lshlrev_b32 v2, 3, v3 :: v_dual_lshlrev_b32 v3, 3, v4
	v_dual_lshlrev_b32 v4, 3, v5 :: v_dual_lshlrev_b32 v5, 3, v0
	s_wait_loadcnt 0x1
	ds_store_b64 v1, v[6:7]
	ds_store_b64 v2, v[8:9]
	s_wait_loadcnt 0x0
	ds_store_b64 v3, v[10:11]
	ds_store_b64 v4, v[12:13]
	s_wait_dscnt 0x0
	s_barrier_signal -1
	s_barrier_wait -1
	ds_load_2addr_stride64_b64 v[0:3], v5 offset1:4
	ds_load_2addr_stride64_b64 v[4:7], v5 offset0:8 offset1:12
	s_wait_dscnt 0x1
	global_store_b128 v14, v[0:3], s[0:1]
	s_wait_dscnt 0x0
	global_store_b128 v14, v[4:7], s[0:1] offset:16
	s_endpgm
	.section	.rodata,"a",@progbits
	.p2align	6, 0x0
	.amdhsa_kernel _Z25scatter_to_striped_kernelIxxLj1024ELj4EEvPT_PT0_Pj
		.amdhsa_group_segment_fixed_size 8448
		.amdhsa_private_segment_fixed_size 0
		.amdhsa_kernarg_size 24
		.amdhsa_user_sgpr_count 2
		.amdhsa_user_sgpr_dispatch_ptr 0
		.amdhsa_user_sgpr_queue_ptr 0
		.amdhsa_user_sgpr_kernarg_segment_ptr 1
		.amdhsa_user_sgpr_dispatch_id 0
		.amdhsa_user_sgpr_kernarg_preload_length 0
		.amdhsa_user_sgpr_kernarg_preload_offset 0
		.amdhsa_user_sgpr_private_segment_size 0
		.amdhsa_wavefront_size32 1
		.amdhsa_uses_dynamic_stack 0
		.amdhsa_enable_private_segment 0
		.amdhsa_system_sgpr_workgroup_id_x 1
		.amdhsa_system_sgpr_workgroup_id_y 0
		.amdhsa_system_sgpr_workgroup_id_z 0
		.amdhsa_system_sgpr_workgroup_info 0
		.amdhsa_system_vgpr_workitem_id 0
		.amdhsa_next_free_vgpr 15
		.amdhsa_next_free_sgpr 10
		.amdhsa_named_barrier_count 0
		.amdhsa_reserve_vcc 0
		.amdhsa_float_round_mode_32 0
		.amdhsa_float_round_mode_16_64 0
		.amdhsa_float_denorm_mode_32 3
		.amdhsa_float_denorm_mode_16_64 3
		.amdhsa_fp16_overflow 0
		.amdhsa_memory_ordered 1
		.amdhsa_forward_progress 1
		.amdhsa_inst_pref_size 3
		.amdhsa_round_robin_scheduling 0
		.amdhsa_exception_fp_ieee_invalid_op 0
		.amdhsa_exception_fp_denorm_src 0
		.amdhsa_exception_fp_ieee_div_zero 0
		.amdhsa_exception_fp_ieee_overflow 0
		.amdhsa_exception_fp_ieee_underflow 0
		.amdhsa_exception_fp_ieee_inexact 0
		.amdhsa_exception_int_div_zero 0
	.end_amdhsa_kernel
	.section	.text._Z25scatter_to_striped_kernelIxxLj1024ELj4EEvPT_PT0_Pj,"axG",@progbits,_Z25scatter_to_striped_kernelIxxLj1024ELj4EEvPT_PT0_Pj,comdat
.Lfunc_end104:
	.size	_Z25scatter_to_striped_kernelIxxLj1024ELj4EEvPT_PT0_Pj, .Lfunc_end104-_Z25scatter_to_striped_kernelIxxLj1024ELj4EEvPT_PT0_Pj
                                        ; -- End function
	.set _Z25scatter_to_striped_kernelIxxLj1024ELj4EEvPT_PT0_Pj.num_vgpr, 15
	.set _Z25scatter_to_striped_kernelIxxLj1024ELj4EEvPT_PT0_Pj.num_agpr, 0
	.set _Z25scatter_to_striped_kernelIxxLj1024ELj4EEvPT_PT0_Pj.numbered_sgpr, 10
	.set _Z25scatter_to_striped_kernelIxxLj1024ELj4EEvPT_PT0_Pj.num_named_barrier, 0
	.set _Z25scatter_to_striped_kernelIxxLj1024ELj4EEvPT_PT0_Pj.private_seg_size, 0
	.set _Z25scatter_to_striped_kernelIxxLj1024ELj4EEvPT_PT0_Pj.uses_vcc, 0
	.set _Z25scatter_to_striped_kernelIxxLj1024ELj4EEvPT_PT0_Pj.uses_flat_scratch, 0
	.set _Z25scatter_to_striped_kernelIxxLj1024ELj4EEvPT_PT0_Pj.has_dyn_sized_stack, 0
	.set _Z25scatter_to_striped_kernelIxxLj1024ELj4EEvPT_PT0_Pj.has_recursion, 0
	.set _Z25scatter_to_striped_kernelIxxLj1024ELj4EEvPT_PT0_Pj.has_indirect_call, 0
	.section	.AMDGPU.csdata,"",@progbits
; Kernel info:
; codeLenInByte = 280
; TotalNumSgprs: 10
; NumVgprs: 15
; ScratchSize: 0
; MemoryBound: 1
; FloatMode: 240
; IeeeMode: 1
; LDSByteSize: 8448 bytes/workgroup (compile time only)
; SGPRBlocks: 0
; VGPRBlocks: 0
; NumSGPRsForWavesPerEU: 10
; NumVGPRsForWavesPerEU: 15
; NamedBarCnt: 0
; Occupancy: 16
; WaveLimiterHint : 1
; COMPUTE_PGM_RSRC2:SCRATCH_EN: 0
; COMPUTE_PGM_RSRC2:USER_SGPR: 2
; COMPUTE_PGM_RSRC2:TRAP_HANDLER: 0
; COMPUTE_PGM_RSRC2:TGID_X_EN: 1
; COMPUTE_PGM_RSRC2:TGID_Y_EN: 0
; COMPUTE_PGM_RSRC2:TGID_Z_EN: 0
; COMPUTE_PGM_RSRC2:TIDIG_COMP_CNT: 0
	.section	.text._Z25scatter_to_striped_kernelIiiLj128ELj2EEvPT_PT0_Pj,"axG",@progbits,_Z25scatter_to_striped_kernelIiiLj128ELj2EEvPT_PT0_Pj,comdat
	.protected	_Z25scatter_to_striped_kernelIiiLj128ELj2EEvPT_PT0_Pj ; -- Begin function _Z25scatter_to_striped_kernelIiiLj128ELj2EEvPT_PT0_Pj
	.globl	_Z25scatter_to_striped_kernelIiiLj128ELj2EEvPT_PT0_Pj
	.p2align	8
	.type	_Z25scatter_to_striped_kernelIiiLj128ELj2EEvPT_PT0_Pj,@function
_Z25scatter_to_striped_kernelIiiLj128ELj2EEvPT_PT0_Pj: ; @_Z25scatter_to_striped_kernelIiiLj128ELj2EEvPT_PT0_Pj
; %bb.0:
	s_clause 0x1
	s_load_b64 s[2:3], s[0:1], 0x10
	s_load_b128 s[4:7], s[0:1], 0x0
	s_wait_xcnt 0x0
	s_bfe_u32 s0, ttmp6, 0x4000c
	s_and_b32 s1, ttmp6, 15
	s_add_co_i32 s0, s0, 1
	s_getreg_b32 s8, hwreg(HW_REG_IB_STS2, 6, 4)
	s_mul_i32 s0, ttmp9, s0
	s_delay_alu instid0(SALU_CYCLE_1) | instskip(SKIP_4) | instid1(SALU_CYCLE_1)
	s_add_co_i32 s1, s1, s0
	s_cmp_eq_u32 s8, 0
	s_cselect_b32 s0, ttmp9, s1
	s_mov_b32 s1, 0
	s_lshl_b32 s0, s0, 7
	s_lshl_b64 s[0:1], s[0:1], 2
	s_wait_kmcnt 0x0
	s_add_nc_u64 s[2:3], s[2:3], s[0:1]
	global_load_b64 v[2:3], v0, s[2:3] scale_offset
	s_wait_xcnt 0x0
	s_add_nc_u64 s[2:3], s[4:5], s[0:1]
	s_add_nc_u64 s[0:1], s[6:7], s[0:1]
	global_load_b64 v[4:5], v0, s[2:3] scale_offset
	s_wait_loadcnt 0x1
	v_dual_lshlrev_b32 v1, 2, v2 :: v_dual_lshlrev_b32 v2, 2, v3
	v_lshlrev_b32_e32 v3, 2, v0
	s_wait_loadcnt 0x0
	ds_store_b32 v1, v4
	ds_store_b32 v2, v5
	s_wait_dscnt 0x0
	s_barrier_signal -1
	s_barrier_wait -1
	ds_load_2addr_stride64_b32 v[2:3], v3 offset1:1
	s_wait_dscnt 0x0
	global_store_b64 v0, v[2:3], s[0:1] scale_offset
	s_endpgm
	.section	.rodata,"a",@progbits
	.p2align	6, 0x0
	.amdhsa_kernel _Z25scatter_to_striped_kernelIiiLj128ELj2EEvPT_PT0_Pj
		.amdhsa_group_segment_fixed_size 528
		.amdhsa_private_segment_fixed_size 0
		.amdhsa_kernarg_size 24
		.amdhsa_user_sgpr_count 2
		.amdhsa_user_sgpr_dispatch_ptr 0
		.amdhsa_user_sgpr_queue_ptr 0
		.amdhsa_user_sgpr_kernarg_segment_ptr 1
		.amdhsa_user_sgpr_dispatch_id 0
		.amdhsa_user_sgpr_kernarg_preload_length 0
		.amdhsa_user_sgpr_kernarg_preload_offset 0
		.amdhsa_user_sgpr_private_segment_size 0
		.amdhsa_wavefront_size32 1
		.amdhsa_uses_dynamic_stack 0
		.amdhsa_enable_private_segment 0
		.amdhsa_system_sgpr_workgroup_id_x 1
		.amdhsa_system_sgpr_workgroup_id_y 0
		.amdhsa_system_sgpr_workgroup_id_z 0
		.amdhsa_system_sgpr_workgroup_info 0
		.amdhsa_system_vgpr_workitem_id 0
		.amdhsa_next_free_vgpr 6
		.amdhsa_next_free_sgpr 9
		.amdhsa_named_barrier_count 0
		.amdhsa_reserve_vcc 0
		.amdhsa_float_round_mode_32 0
		.amdhsa_float_round_mode_16_64 0
		.amdhsa_float_denorm_mode_32 3
		.amdhsa_float_denorm_mode_16_64 3
		.amdhsa_fp16_overflow 0
		.amdhsa_memory_ordered 1
		.amdhsa_forward_progress 1
		.amdhsa_inst_pref_size 2
		.amdhsa_round_robin_scheduling 0
		.amdhsa_exception_fp_ieee_invalid_op 0
		.amdhsa_exception_fp_denorm_src 0
		.amdhsa_exception_fp_ieee_div_zero 0
		.amdhsa_exception_fp_ieee_overflow 0
		.amdhsa_exception_fp_ieee_underflow 0
		.amdhsa_exception_fp_ieee_inexact 0
		.amdhsa_exception_int_div_zero 0
	.end_amdhsa_kernel
	.section	.text._Z25scatter_to_striped_kernelIiiLj128ELj2EEvPT_PT0_Pj,"axG",@progbits,_Z25scatter_to_striped_kernelIiiLj128ELj2EEvPT_PT0_Pj,comdat
.Lfunc_end105:
	.size	_Z25scatter_to_striped_kernelIiiLj128ELj2EEvPT_PT0_Pj, .Lfunc_end105-_Z25scatter_to_striped_kernelIiiLj128ELj2EEvPT_PT0_Pj
                                        ; -- End function
	.set _Z25scatter_to_striped_kernelIiiLj128ELj2EEvPT_PT0_Pj.num_vgpr, 6
	.set _Z25scatter_to_striped_kernelIiiLj128ELj2EEvPT_PT0_Pj.num_agpr, 0
	.set _Z25scatter_to_striped_kernelIiiLj128ELj2EEvPT_PT0_Pj.numbered_sgpr, 9
	.set _Z25scatter_to_striped_kernelIiiLj128ELj2EEvPT_PT0_Pj.num_named_barrier, 0
	.set _Z25scatter_to_striped_kernelIiiLj128ELj2EEvPT_PT0_Pj.private_seg_size, 0
	.set _Z25scatter_to_striped_kernelIiiLj128ELj2EEvPT_PT0_Pj.uses_vcc, 0
	.set _Z25scatter_to_striped_kernelIiiLj128ELj2EEvPT_PT0_Pj.uses_flat_scratch, 0
	.set _Z25scatter_to_striped_kernelIiiLj128ELj2EEvPT_PT0_Pj.has_dyn_sized_stack, 0
	.set _Z25scatter_to_striped_kernelIiiLj128ELj2EEvPT_PT0_Pj.has_recursion, 0
	.set _Z25scatter_to_striped_kernelIiiLj128ELj2EEvPT_PT0_Pj.has_indirect_call, 0
	.section	.AMDGPU.csdata,"",@progbits
; Kernel info:
; codeLenInByte = 200
; TotalNumSgprs: 9
; NumVgprs: 6
; ScratchSize: 0
; MemoryBound: 0
; FloatMode: 240
; IeeeMode: 1
; LDSByteSize: 528 bytes/workgroup (compile time only)
; SGPRBlocks: 0
; VGPRBlocks: 0
; NumSGPRsForWavesPerEU: 9
; NumVGPRsForWavesPerEU: 6
; NamedBarCnt: 0
; Occupancy: 16
; WaveLimiterHint : 0
; COMPUTE_PGM_RSRC2:SCRATCH_EN: 0
; COMPUTE_PGM_RSRC2:USER_SGPR: 2
; COMPUTE_PGM_RSRC2:TRAP_HANDLER: 0
; COMPUTE_PGM_RSRC2:TGID_X_EN: 1
; COMPUTE_PGM_RSRC2:TGID_Y_EN: 0
; COMPUTE_PGM_RSRC2:TGID_Z_EN: 0
; COMPUTE_PGM_RSRC2:TIDIG_COMP_CNT: 0
	.section	.text._Z25scatter_to_striped_kernelIxxLj512ELj1EEvPT_PT0_Pj,"axG",@progbits,_Z25scatter_to_striped_kernelIxxLj512ELj1EEvPT_PT0_Pj,comdat
	.protected	_Z25scatter_to_striped_kernelIxxLj512ELj1EEvPT_PT0_Pj ; -- Begin function _Z25scatter_to_striped_kernelIxxLj512ELj1EEvPT_PT0_Pj
	.globl	_Z25scatter_to_striped_kernelIxxLj512ELj1EEvPT_PT0_Pj
	.p2align	8
	.type	_Z25scatter_to_striped_kernelIxxLj512ELj1EEvPT_PT0_Pj,@function
_Z25scatter_to_striped_kernelIxxLj512ELj1EEvPT_PT0_Pj: ; @_Z25scatter_to_striped_kernelIxxLj512ELj1EEvPT_PT0_Pj
; %bb.0:
	s_clause 0x1
	s_load_b64 s[2:3], s[0:1], 0x10
	s_load_b128 s[4:7], s[0:1], 0x0
	s_wait_xcnt 0x0
	s_bfe_u32 s0, ttmp6, 0x4000c
	s_and_b32 s1, ttmp6, 15
	s_add_co_i32 s0, s0, 1
	s_getreg_b32 s8, hwreg(HW_REG_IB_STS2, 6, 4)
	s_mul_i32 s0, ttmp9, s0
	v_lshlrev_b32_e32 v4, 3, v0
	s_add_co_i32 s1, s1, s0
	s_cmp_eq_u32 s8, 0
	s_cselect_b32 s0, ttmp9, s1
	s_mov_b32 s1, 0
	s_lshl_b32 s0, s0, 9
	s_delay_alu instid0(SALU_CYCLE_1)
	s_lshl_b64 s[8:9], s[0:1], 2
	s_lshl_b64 s[0:1], s[0:1], 3
	s_wait_kmcnt 0x0
	s_add_nc_u64 s[2:3], s[2:3], s[8:9]
	global_load_b32 v1, v0, s[2:3] scale_offset
	s_wait_xcnt 0x0
	s_add_nc_u64 s[2:3], s[4:5], s[0:1]
	s_add_nc_u64 s[0:1], s[6:7], s[0:1]
	global_load_b64 v[2:3], v0, s[2:3] scale_offset
	s_wait_loadcnt 0x1
	v_lshlrev_b32_e32 v1, 3, v1
	s_wait_loadcnt 0x0
	ds_store_b64 v1, v[2:3]
	s_wait_dscnt 0x0
	s_barrier_signal -1
	s_barrier_wait -1
	ds_load_b64 v[2:3], v4
	s_wait_dscnt 0x0
	global_store_b64 v0, v[2:3], s[0:1] scale_offset
	s_endpgm
	.section	.rodata,"a",@progbits
	.p2align	6, 0x0
	.amdhsa_kernel _Z25scatter_to_striped_kernelIxxLj512ELj1EEvPT_PT0_Pj
		.amdhsa_group_segment_fixed_size 4096
		.amdhsa_private_segment_fixed_size 0
		.amdhsa_kernarg_size 24
		.amdhsa_user_sgpr_count 2
		.amdhsa_user_sgpr_dispatch_ptr 0
		.amdhsa_user_sgpr_queue_ptr 0
		.amdhsa_user_sgpr_kernarg_segment_ptr 1
		.amdhsa_user_sgpr_dispatch_id 0
		.amdhsa_user_sgpr_kernarg_preload_length 0
		.amdhsa_user_sgpr_kernarg_preload_offset 0
		.amdhsa_user_sgpr_private_segment_size 0
		.amdhsa_wavefront_size32 1
		.amdhsa_uses_dynamic_stack 0
		.amdhsa_enable_private_segment 0
		.amdhsa_system_sgpr_workgroup_id_x 1
		.amdhsa_system_sgpr_workgroup_id_y 0
		.amdhsa_system_sgpr_workgroup_id_z 0
		.amdhsa_system_sgpr_workgroup_info 0
		.amdhsa_system_vgpr_workitem_id 0
		.amdhsa_next_free_vgpr 5
		.amdhsa_next_free_sgpr 10
		.amdhsa_named_barrier_count 0
		.amdhsa_reserve_vcc 0
		.amdhsa_float_round_mode_32 0
		.amdhsa_float_round_mode_16_64 0
		.amdhsa_float_denorm_mode_32 3
		.amdhsa_float_denorm_mode_16_64 3
		.amdhsa_fp16_overflow 0
		.amdhsa_memory_ordered 1
		.amdhsa_forward_progress 1
		.amdhsa_inst_pref_size 2
		.amdhsa_round_robin_scheduling 0
		.amdhsa_exception_fp_ieee_invalid_op 0
		.amdhsa_exception_fp_denorm_src 0
		.amdhsa_exception_fp_ieee_div_zero 0
		.amdhsa_exception_fp_ieee_overflow 0
		.amdhsa_exception_fp_ieee_underflow 0
		.amdhsa_exception_fp_ieee_inexact 0
		.amdhsa_exception_int_div_zero 0
	.end_amdhsa_kernel
	.section	.text._Z25scatter_to_striped_kernelIxxLj512ELj1EEvPT_PT0_Pj,"axG",@progbits,_Z25scatter_to_striped_kernelIxxLj512ELj1EEvPT_PT0_Pj,comdat
.Lfunc_end106:
	.size	_Z25scatter_to_striped_kernelIxxLj512ELj1EEvPT_PT0_Pj, .Lfunc_end106-_Z25scatter_to_striped_kernelIxxLj512ELj1EEvPT_PT0_Pj
                                        ; -- End function
	.set _Z25scatter_to_striped_kernelIxxLj512ELj1EEvPT_PT0_Pj.num_vgpr, 5
	.set _Z25scatter_to_striped_kernelIxxLj512ELj1EEvPT_PT0_Pj.num_agpr, 0
	.set _Z25scatter_to_striped_kernelIxxLj512ELj1EEvPT_PT0_Pj.numbered_sgpr, 10
	.set _Z25scatter_to_striped_kernelIxxLj512ELj1EEvPT_PT0_Pj.num_named_barrier, 0
	.set _Z25scatter_to_striped_kernelIxxLj512ELj1EEvPT_PT0_Pj.private_seg_size, 0
	.set _Z25scatter_to_striped_kernelIxxLj512ELj1EEvPT_PT0_Pj.uses_vcc, 0
	.set _Z25scatter_to_striped_kernelIxxLj512ELj1EEvPT_PT0_Pj.uses_flat_scratch, 0
	.set _Z25scatter_to_striped_kernelIxxLj512ELj1EEvPT_PT0_Pj.has_dyn_sized_stack, 0
	.set _Z25scatter_to_striped_kernelIxxLj512ELj1EEvPT_PT0_Pj.has_recursion, 0
	.set _Z25scatter_to_striped_kernelIxxLj512ELj1EEvPT_PT0_Pj.has_indirect_call, 0
	.section	.AMDGPU.csdata,"",@progbits
; Kernel info:
; codeLenInByte = 188
; TotalNumSgprs: 10
; NumVgprs: 5
; ScratchSize: 0
; MemoryBound: 0
; FloatMode: 240
; IeeeMode: 1
; LDSByteSize: 4096 bytes/workgroup (compile time only)
; SGPRBlocks: 0
; VGPRBlocks: 0
; NumSGPRsForWavesPerEU: 10
; NumVGPRsForWavesPerEU: 5
; NamedBarCnt: 0
; Occupancy: 16
; WaveLimiterHint : 0
; COMPUTE_PGM_RSRC2:SCRATCH_EN: 0
; COMPUTE_PGM_RSRC2:USER_SGPR: 2
; COMPUTE_PGM_RSRC2:TRAP_HANDLER: 0
; COMPUTE_PGM_RSRC2:TGID_X_EN: 1
; COMPUTE_PGM_RSRC2:TGID_Y_EN: 0
; COMPUTE_PGM_RSRC2:TGID_Z_EN: 0
; COMPUTE_PGM_RSRC2:TIDIG_COMP_CNT: 0
	.section	.text._Z25scatter_to_striped_kernelIs5dummyIiELj256ELj1EEvPT_PT0_Pj,"axG",@progbits,_Z25scatter_to_striped_kernelIs5dummyIiELj256ELj1EEvPT_PT0_Pj,comdat
	.protected	_Z25scatter_to_striped_kernelIs5dummyIiELj256ELj1EEvPT_PT0_Pj ; -- Begin function _Z25scatter_to_striped_kernelIs5dummyIiELj256ELj1EEvPT_PT0_Pj
	.globl	_Z25scatter_to_striped_kernelIs5dummyIiELj256ELj1EEvPT_PT0_Pj
	.p2align	8
	.type	_Z25scatter_to_striped_kernelIs5dummyIiELj256ELj1EEvPT_PT0_Pj,@function
_Z25scatter_to_striped_kernelIs5dummyIiELj256ELj1EEvPT_PT0_Pj: ; @_Z25scatter_to_striped_kernelIs5dummyIiELj256ELj1EEvPT_PT0_Pj
; %bb.0:
	s_clause 0x1
	s_load_b64 s[2:3], s[0:1], 0x10
	s_load_b128 s[4:7], s[0:1], 0x0
	s_wait_xcnt 0x0
	s_bfe_u32 s0, ttmp6, 0x4000c
	s_and_b32 s1, ttmp6, 15
	s_add_co_i32 s0, s0, 1
	s_getreg_b32 s8, hwreg(HW_REG_IB_STS2, 6, 4)
	s_mul_i32 s0, ttmp9, s0
	v_lshlrev_b32_e32 v3, 1, v0
	s_add_co_i32 s1, s1, s0
	s_cmp_eq_u32 s8, 0
	s_cselect_b32 s0, ttmp9, s1
	s_mov_b32 s1, 0
	s_lshl_b32 s0, s0, 8
	s_delay_alu instid0(SALU_CYCLE_1)
	s_lshl_b64 s[8:9], s[0:1], 2
	s_wait_kmcnt 0x0
	s_add_nc_u64 s[2:3], s[2:3], s[8:9]
	global_load_b32 v1, v0, s[2:3] scale_offset
	s_wait_xcnt 0x0
	s_lshl_b64 s[2:3], s[0:1], 1
	s_lshl_b64 s[0:1], s[0:1], 3
	s_add_nc_u64 s[2:3], s[4:5], s[2:3]
	s_add_nc_u64 s[0:1], s[6:7], s[0:1]
	global_load_u16 v2, v0, s[2:3] scale_offset
	s_wait_loadcnt 0x1
	v_lshlrev_b32_e32 v1, 1, v1
	s_wait_loadcnt 0x0
	ds_store_b16 v1, v2
	s_wait_dscnt 0x0
	s_barrier_signal -1
	s_barrier_wait -1
	ds_load_i16 v1, v3
	s_wait_dscnt 0x0
	v_dual_lshlrev_b32 v3, 1, v1 :: v_dual_add_nc_u32 v2, 1, v1
	global_store_b64 v0, v[2:3], s[0:1] scale_offset
	s_endpgm
	.section	.rodata,"a",@progbits
	.p2align	6, 0x0
	.amdhsa_kernel _Z25scatter_to_striped_kernelIs5dummyIiELj256ELj1EEvPT_PT0_Pj
		.amdhsa_group_segment_fixed_size 512
		.amdhsa_private_segment_fixed_size 0
		.amdhsa_kernarg_size 24
		.amdhsa_user_sgpr_count 2
		.amdhsa_user_sgpr_dispatch_ptr 0
		.amdhsa_user_sgpr_queue_ptr 0
		.amdhsa_user_sgpr_kernarg_segment_ptr 1
		.amdhsa_user_sgpr_dispatch_id 0
		.amdhsa_user_sgpr_kernarg_preload_length 0
		.amdhsa_user_sgpr_kernarg_preload_offset 0
		.amdhsa_user_sgpr_private_segment_size 0
		.amdhsa_wavefront_size32 1
		.amdhsa_uses_dynamic_stack 0
		.amdhsa_enable_private_segment 0
		.amdhsa_system_sgpr_workgroup_id_x 1
		.amdhsa_system_sgpr_workgroup_id_y 0
		.amdhsa_system_sgpr_workgroup_id_z 0
		.amdhsa_system_sgpr_workgroup_info 0
		.amdhsa_system_vgpr_workitem_id 0
		.amdhsa_next_free_vgpr 4
		.amdhsa_next_free_sgpr 10
		.amdhsa_named_barrier_count 0
		.amdhsa_reserve_vcc 0
		.amdhsa_float_round_mode_32 0
		.amdhsa_float_round_mode_16_64 0
		.amdhsa_float_denorm_mode_32 3
		.amdhsa_float_denorm_mode_16_64 3
		.amdhsa_fp16_overflow 0
		.amdhsa_memory_ordered 1
		.amdhsa_forward_progress 1
		.amdhsa_inst_pref_size 2
		.amdhsa_round_robin_scheduling 0
		.amdhsa_exception_fp_ieee_invalid_op 0
		.amdhsa_exception_fp_denorm_src 0
		.amdhsa_exception_fp_ieee_div_zero 0
		.amdhsa_exception_fp_ieee_overflow 0
		.amdhsa_exception_fp_ieee_underflow 0
		.amdhsa_exception_fp_ieee_inexact 0
		.amdhsa_exception_int_div_zero 0
	.end_amdhsa_kernel
	.section	.text._Z25scatter_to_striped_kernelIs5dummyIiELj256ELj1EEvPT_PT0_Pj,"axG",@progbits,_Z25scatter_to_striped_kernelIs5dummyIiELj256ELj1EEvPT_PT0_Pj,comdat
.Lfunc_end107:
	.size	_Z25scatter_to_striped_kernelIs5dummyIiELj256ELj1EEvPT_PT0_Pj, .Lfunc_end107-_Z25scatter_to_striped_kernelIs5dummyIiELj256ELj1EEvPT_PT0_Pj
                                        ; -- End function
	.set _Z25scatter_to_striped_kernelIs5dummyIiELj256ELj1EEvPT_PT0_Pj.num_vgpr, 4
	.set _Z25scatter_to_striped_kernelIs5dummyIiELj256ELj1EEvPT_PT0_Pj.num_agpr, 0
	.set _Z25scatter_to_striped_kernelIs5dummyIiELj256ELj1EEvPT_PT0_Pj.numbered_sgpr, 10
	.set _Z25scatter_to_striped_kernelIs5dummyIiELj256ELj1EEvPT_PT0_Pj.num_named_barrier, 0
	.set _Z25scatter_to_striped_kernelIs5dummyIiELj256ELj1EEvPT_PT0_Pj.private_seg_size, 0
	.set _Z25scatter_to_striped_kernelIs5dummyIiELj256ELj1EEvPT_PT0_Pj.uses_vcc, 0
	.set _Z25scatter_to_striped_kernelIs5dummyIiELj256ELj1EEvPT_PT0_Pj.uses_flat_scratch, 0
	.set _Z25scatter_to_striped_kernelIs5dummyIiELj256ELj1EEvPT_PT0_Pj.has_dyn_sized_stack, 0
	.set _Z25scatter_to_striped_kernelIs5dummyIiELj256ELj1EEvPT_PT0_Pj.has_recursion, 0
	.set _Z25scatter_to_striped_kernelIs5dummyIiELj256ELj1EEvPT_PT0_Pj.has_indirect_call, 0
	.section	.AMDGPU.csdata,"",@progbits
; Kernel info:
; codeLenInByte = 204
; TotalNumSgprs: 10
; NumVgprs: 4
; ScratchSize: 0
; MemoryBound: 0
; FloatMode: 240
; IeeeMode: 1
; LDSByteSize: 512 bytes/workgroup (compile time only)
; SGPRBlocks: 0
; VGPRBlocks: 0
; NumSGPRsForWavesPerEU: 10
; NumVGPRsForWavesPerEU: 4
; NamedBarCnt: 0
; Occupancy: 16
; WaveLimiterHint : 0
; COMPUTE_PGM_RSRC2:SCRATCH_EN: 0
; COMPUTE_PGM_RSRC2:USER_SGPR: 2
; COMPUTE_PGM_RSRC2:TRAP_HANDLER: 0
; COMPUTE_PGM_RSRC2:TGID_X_EN: 1
; COMPUTE_PGM_RSRC2:TGID_Y_EN: 0
; COMPUTE_PGM_RSRC2:TGID_Z_EN: 0
; COMPUTE_PGM_RSRC2:TIDIG_COMP_CNT: 0
	.section	.text._Z25scatter_to_striped_kernelIyyLj128ELj1EEvPT_PT0_Pj,"axG",@progbits,_Z25scatter_to_striped_kernelIyyLj128ELj1EEvPT_PT0_Pj,comdat
	.protected	_Z25scatter_to_striped_kernelIyyLj128ELj1EEvPT_PT0_Pj ; -- Begin function _Z25scatter_to_striped_kernelIyyLj128ELj1EEvPT_PT0_Pj
	.globl	_Z25scatter_to_striped_kernelIyyLj128ELj1EEvPT_PT0_Pj
	.p2align	8
	.type	_Z25scatter_to_striped_kernelIyyLj128ELj1EEvPT_PT0_Pj,@function
_Z25scatter_to_striped_kernelIyyLj128ELj1EEvPT_PT0_Pj: ; @_Z25scatter_to_striped_kernelIyyLj128ELj1EEvPT_PT0_Pj
; %bb.0:
	s_clause 0x1
	s_load_b64 s[2:3], s[0:1], 0x10
	s_load_b128 s[4:7], s[0:1], 0x0
	s_wait_xcnt 0x0
	s_bfe_u32 s0, ttmp6, 0x4000c
	s_and_b32 s1, ttmp6, 15
	s_add_co_i32 s0, s0, 1
	s_getreg_b32 s8, hwreg(HW_REG_IB_STS2, 6, 4)
	s_mul_i32 s0, ttmp9, s0
	v_lshlrev_b32_e32 v4, 3, v0
	s_add_co_i32 s1, s1, s0
	s_cmp_eq_u32 s8, 0
	s_cselect_b32 s0, ttmp9, s1
	s_mov_b32 s1, 0
	s_lshl_b32 s0, s0, 7
	s_delay_alu instid0(SALU_CYCLE_1)
	s_lshl_b64 s[8:9], s[0:1], 2
	s_lshl_b64 s[0:1], s[0:1], 3
	s_wait_kmcnt 0x0
	s_add_nc_u64 s[2:3], s[2:3], s[8:9]
	global_load_b32 v1, v0, s[2:3] scale_offset
	s_wait_xcnt 0x0
	s_add_nc_u64 s[2:3], s[4:5], s[0:1]
	s_add_nc_u64 s[0:1], s[6:7], s[0:1]
	global_load_b64 v[2:3], v0, s[2:3] scale_offset
	s_wait_loadcnt 0x1
	v_lshlrev_b32_e32 v1, 3, v1
	s_wait_loadcnt 0x0
	ds_store_b64 v1, v[2:3]
	s_wait_dscnt 0x0
	s_barrier_signal -1
	s_barrier_wait -1
	ds_load_b64 v[2:3], v4
	s_wait_dscnt 0x0
	global_store_b64 v0, v[2:3], s[0:1] scale_offset
	s_endpgm
	.section	.rodata,"a",@progbits
	.p2align	6, 0x0
	.amdhsa_kernel _Z25scatter_to_striped_kernelIyyLj128ELj1EEvPT_PT0_Pj
		.amdhsa_group_segment_fixed_size 1024
		.amdhsa_private_segment_fixed_size 0
		.amdhsa_kernarg_size 24
		.amdhsa_user_sgpr_count 2
		.amdhsa_user_sgpr_dispatch_ptr 0
		.amdhsa_user_sgpr_queue_ptr 0
		.amdhsa_user_sgpr_kernarg_segment_ptr 1
		.amdhsa_user_sgpr_dispatch_id 0
		.amdhsa_user_sgpr_kernarg_preload_length 0
		.amdhsa_user_sgpr_kernarg_preload_offset 0
		.amdhsa_user_sgpr_private_segment_size 0
		.amdhsa_wavefront_size32 1
		.amdhsa_uses_dynamic_stack 0
		.amdhsa_enable_private_segment 0
		.amdhsa_system_sgpr_workgroup_id_x 1
		.amdhsa_system_sgpr_workgroup_id_y 0
		.amdhsa_system_sgpr_workgroup_id_z 0
		.amdhsa_system_sgpr_workgroup_info 0
		.amdhsa_system_vgpr_workitem_id 0
		.amdhsa_next_free_vgpr 5
		.amdhsa_next_free_sgpr 10
		.amdhsa_named_barrier_count 0
		.amdhsa_reserve_vcc 0
		.amdhsa_float_round_mode_32 0
		.amdhsa_float_round_mode_16_64 0
		.amdhsa_float_denorm_mode_32 3
		.amdhsa_float_denorm_mode_16_64 3
		.amdhsa_fp16_overflow 0
		.amdhsa_memory_ordered 1
		.amdhsa_forward_progress 1
		.amdhsa_inst_pref_size 2
		.amdhsa_round_robin_scheduling 0
		.amdhsa_exception_fp_ieee_invalid_op 0
		.amdhsa_exception_fp_denorm_src 0
		.amdhsa_exception_fp_ieee_div_zero 0
		.amdhsa_exception_fp_ieee_overflow 0
		.amdhsa_exception_fp_ieee_underflow 0
		.amdhsa_exception_fp_ieee_inexact 0
		.amdhsa_exception_int_div_zero 0
	.end_amdhsa_kernel
	.section	.text._Z25scatter_to_striped_kernelIyyLj128ELj1EEvPT_PT0_Pj,"axG",@progbits,_Z25scatter_to_striped_kernelIyyLj128ELj1EEvPT_PT0_Pj,comdat
.Lfunc_end108:
	.size	_Z25scatter_to_striped_kernelIyyLj128ELj1EEvPT_PT0_Pj, .Lfunc_end108-_Z25scatter_to_striped_kernelIyyLj128ELj1EEvPT_PT0_Pj
                                        ; -- End function
	.set _Z25scatter_to_striped_kernelIyyLj128ELj1EEvPT_PT0_Pj.num_vgpr, 5
	.set _Z25scatter_to_striped_kernelIyyLj128ELj1EEvPT_PT0_Pj.num_agpr, 0
	.set _Z25scatter_to_striped_kernelIyyLj128ELj1EEvPT_PT0_Pj.numbered_sgpr, 10
	.set _Z25scatter_to_striped_kernelIyyLj128ELj1EEvPT_PT0_Pj.num_named_barrier, 0
	.set _Z25scatter_to_striped_kernelIyyLj128ELj1EEvPT_PT0_Pj.private_seg_size, 0
	.set _Z25scatter_to_striped_kernelIyyLj128ELj1EEvPT_PT0_Pj.uses_vcc, 0
	.set _Z25scatter_to_striped_kernelIyyLj128ELj1EEvPT_PT0_Pj.uses_flat_scratch, 0
	.set _Z25scatter_to_striped_kernelIyyLj128ELj1EEvPT_PT0_Pj.has_dyn_sized_stack, 0
	.set _Z25scatter_to_striped_kernelIyyLj128ELj1EEvPT_PT0_Pj.has_recursion, 0
	.set _Z25scatter_to_striped_kernelIyyLj128ELj1EEvPT_PT0_Pj.has_indirect_call, 0
	.section	.AMDGPU.csdata,"",@progbits
; Kernel info:
; codeLenInByte = 188
; TotalNumSgprs: 10
; NumVgprs: 5
; ScratchSize: 0
; MemoryBound: 0
; FloatMode: 240
; IeeeMode: 1
; LDSByteSize: 1024 bytes/workgroup (compile time only)
; SGPRBlocks: 0
; VGPRBlocks: 0
; NumSGPRsForWavesPerEU: 10
; NumVGPRsForWavesPerEU: 5
; NamedBarCnt: 0
; Occupancy: 16
; WaveLimiterHint : 0
; COMPUTE_PGM_RSRC2:SCRATCH_EN: 0
; COMPUTE_PGM_RSRC2:USER_SGPR: 2
; COMPUTE_PGM_RSRC2:TRAP_HANDLER: 0
; COMPUTE_PGM_RSRC2:TGID_X_EN: 1
; COMPUTE_PGM_RSRC2:TGID_Y_EN: 0
; COMPUTE_PGM_RSRC2:TGID_Z_EN: 0
; COMPUTE_PGM_RSRC2:TIDIG_COMP_CNT: 0
	.section	.text._Z25scatter_to_striped_kernelIixLj64ELj1EEvPT_PT0_Pj,"axG",@progbits,_Z25scatter_to_striped_kernelIixLj64ELj1EEvPT_PT0_Pj,comdat
	.protected	_Z25scatter_to_striped_kernelIixLj64ELj1EEvPT_PT0_Pj ; -- Begin function _Z25scatter_to_striped_kernelIixLj64ELj1EEvPT_PT0_Pj
	.globl	_Z25scatter_to_striped_kernelIixLj64ELj1EEvPT_PT0_Pj
	.p2align	8
	.type	_Z25scatter_to_striped_kernelIixLj64ELj1EEvPT_PT0_Pj,@function
_Z25scatter_to_striped_kernelIixLj64ELj1EEvPT_PT0_Pj: ; @_Z25scatter_to_striped_kernelIixLj64ELj1EEvPT_PT0_Pj
; %bb.0:
	s_clause 0x1
	s_load_b64 s[2:3], s[0:1], 0x10
	s_load_b128 s[4:7], s[0:1], 0x0
	s_wait_xcnt 0x0
	s_bfe_u32 s0, ttmp6, 0x4000c
	s_and_b32 s1, ttmp6, 15
	s_add_co_i32 s0, s0, 1
	s_getreg_b32 s8, hwreg(HW_REG_IB_STS2, 6, 4)
	s_mul_i32 s0, ttmp9, s0
	v_lshlrev_b32_e32 v3, 2, v0
	s_add_co_i32 s1, s1, s0
	s_cmp_eq_u32 s8, 0
	s_cselect_b32 s0, ttmp9, s1
	s_mov_b32 s1, 0
	s_lshl_b32 s0, s0, 6
	s_delay_alu instid0(SALU_CYCLE_1)
	s_lshl_b64 s[8:9], s[0:1], 2
	s_lshl_b64 s[0:1], s[0:1], 3
	s_wait_kmcnt 0x0
	s_add_nc_u64 s[2:3], s[2:3], s[8:9]
	s_add_nc_u64 s[0:1], s[6:7], s[0:1]
	global_load_b32 v1, v0, s[2:3] scale_offset
	s_wait_xcnt 0x0
	s_add_nc_u64 s[2:3], s[4:5], s[8:9]
	global_load_b32 v2, v0, s[2:3] scale_offset
	s_wait_loadcnt 0x1
	v_lshlrev_b32_e32 v1, 2, v1
	s_wait_loadcnt 0x0
	ds_store_b32 v1, v2
	s_wait_dscnt 0x0
	s_barrier_signal -1
	s_barrier_wait -1
	ds_load_b32 v2, v3
	s_wait_dscnt 0x0
	v_ashrrev_i32_e32 v3, 31, v2
	global_store_b64 v0, v[2:3], s[0:1] scale_offset
	s_endpgm
	.section	.rodata,"a",@progbits
	.p2align	6, 0x0
	.amdhsa_kernel _Z25scatter_to_striped_kernelIixLj64ELj1EEvPT_PT0_Pj
		.amdhsa_group_segment_fixed_size 256
		.amdhsa_private_segment_fixed_size 0
		.amdhsa_kernarg_size 24
		.amdhsa_user_sgpr_count 2
		.amdhsa_user_sgpr_dispatch_ptr 0
		.amdhsa_user_sgpr_queue_ptr 0
		.amdhsa_user_sgpr_kernarg_segment_ptr 1
		.amdhsa_user_sgpr_dispatch_id 0
		.amdhsa_user_sgpr_kernarg_preload_length 0
		.amdhsa_user_sgpr_kernarg_preload_offset 0
		.amdhsa_user_sgpr_private_segment_size 0
		.amdhsa_wavefront_size32 1
		.amdhsa_uses_dynamic_stack 0
		.amdhsa_enable_private_segment 0
		.amdhsa_system_sgpr_workgroup_id_x 1
		.amdhsa_system_sgpr_workgroup_id_y 0
		.amdhsa_system_sgpr_workgroup_id_z 0
		.amdhsa_system_sgpr_workgroup_info 0
		.amdhsa_system_vgpr_workitem_id 0
		.amdhsa_next_free_vgpr 4
		.amdhsa_next_free_sgpr 10
		.amdhsa_named_barrier_count 0
		.amdhsa_reserve_vcc 0
		.amdhsa_float_round_mode_32 0
		.amdhsa_float_round_mode_16_64 0
		.amdhsa_float_denorm_mode_32 3
		.amdhsa_float_denorm_mode_16_64 3
		.amdhsa_fp16_overflow 0
		.amdhsa_memory_ordered 1
		.amdhsa_forward_progress 1
		.amdhsa_inst_pref_size 2
		.amdhsa_round_robin_scheduling 0
		.amdhsa_exception_fp_ieee_invalid_op 0
		.amdhsa_exception_fp_denorm_src 0
		.amdhsa_exception_fp_ieee_div_zero 0
		.amdhsa_exception_fp_ieee_overflow 0
		.amdhsa_exception_fp_ieee_underflow 0
		.amdhsa_exception_fp_ieee_inexact 0
		.amdhsa_exception_int_div_zero 0
	.end_amdhsa_kernel
	.section	.text._Z25scatter_to_striped_kernelIixLj64ELj1EEvPT_PT0_Pj,"axG",@progbits,_Z25scatter_to_striped_kernelIixLj64ELj1EEvPT_PT0_Pj,comdat
.Lfunc_end109:
	.size	_Z25scatter_to_striped_kernelIixLj64ELj1EEvPT_PT0_Pj, .Lfunc_end109-_Z25scatter_to_striped_kernelIixLj64ELj1EEvPT_PT0_Pj
                                        ; -- End function
	.set _Z25scatter_to_striped_kernelIixLj64ELj1EEvPT_PT0_Pj.num_vgpr, 4
	.set _Z25scatter_to_striped_kernelIixLj64ELj1EEvPT_PT0_Pj.num_agpr, 0
	.set _Z25scatter_to_striped_kernelIixLj64ELj1EEvPT_PT0_Pj.numbered_sgpr, 10
	.set _Z25scatter_to_striped_kernelIixLj64ELj1EEvPT_PT0_Pj.num_named_barrier, 0
	.set _Z25scatter_to_striped_kernelIixLj64ELj1EEvPT_PT0_Pj.private_seg_size, 0
	.set _Z25scatter_to_striped_kernelIixLj64ELj1EEvPT_PT0_Pj.uses_vcc, 0
	.set _Z25scatter_to_striped_kernelIixLj64ELj1EEvPT_PT0_Pj.uses_flat_scratch, 0
	.set _Z25scatter_to_striped_kernelIixLj64ELj1EEvPT_PT0_Pj.has_dyn_sized_stack, 0
	.set _Z25scatter_to_striped_kernelIixLj64ELj1EEvPT_PT0_Pj.has_recursion, 0
	.set _Z25scatter_to_striped_kernelIixLj64ELj1EEvPT_PT0_Pj.has_indirect_call, 0
	.section	.AMDGPU.csdata,"",@progbits
; Kernel info:
; codeLenInByte = 192
; TotalNumSgprs: 10
; NumVgprs: 4
; ScratchSize: 0
; MemoryBound: 0
; FloatMode: 240
; IeeeMode: 1
; LDSByteSize: 256 bytes/workgroup (compile time only)
; SGPRBlocks: 0
; VGPRBlocks: 0
; NumSGPRsForWavesPerEU: 10
; NumVGPRsForWavesPerEU: 4
; NamedBarCnt: 0
; Occupancy: 16
; WaveLimiterHint : 0
; COMPUTE_PGM_RSRC2:SCRATCH_EN: 0
; COMPUTE_PGM_RSRC2:USER_SGPR: 2
; COMPUTE_PGM_RSRC2:TRAP_HANDLER: 0
; COMPUTE_PGM_RSRC2:TGID_X_EN: 1
; COMPUTE_PGM_RSRC2:TGID_Y_EN: 0
; COMPUTE_PGM_RSRC2:TGID_Z_EN: 0
; COMPUTE_PGM_RSRC2:TIDIG_COMP_CNT: 0
	.section	.text._Z25scatter_to_striped_kernelI6__halfS0_Lj512ELj4EEvPT_PT0_Pj,"axG",@progbits,_Z25scatter_to_striped_kernelI6__halfS0_Lj512ELj4EEvPT_PT0_Pj,comdat
	.protected	_Z25scatter_to_striped_kernelI6__halfS0_Lj512ELj4EEvPT_PT0_Pj ; -- Begin function _Z25scatter_to_striped_kernelI6__halfS0_Lj512ELj4EEvPT_PT0_Pj
	.globl	_Z25scatter_to_striped_kernelI6__halfS0_Lj512ELj4EEvPT_PT0_Pj
	.p2align	8
	.type	_Z25scatter_to_striped_kernelI6__halfS0_Lj512ELj4EEvPT_PT0_Pj,@function
_Z25scatter_to_striped_kernelI6__halfS0_Lj512ELj4EEvPT_PT0_Pj: ; @_Z25scatter_to_striped_kernelI6__halfS0_Lj512ELj4EEvPT_PT0_Pj
; %bb.0:
	s_clause 0x1
	s_load_b64 s[2:3], s[0:1], 0x10
	s_load_b128 s[4:7], s[0:1], 0x0
	s_wait_xcnt 0x0
	s_bfe_u32 s0, ttmp6, 0x4000c
	s_and_b32 s1, ttmp6, 15
	s_add_co_i32 s0, s0, 1
	s_getreg_b32 s8, hwreg(HW_REG_IB_STS2, 6, 4)
	s_mul_i32 s0, ttmp9, s0
	s_delay_alu instid0(SALU_CYCLE_1) | instskip(SKIP_4) | instid1(SALU_CYCLE_1)
	s_add_co_i32 s1, s1, s0
	s_cmp_eq_u32 s8, 0
	s_cselect_b32 s0, ttmp9, s1
	s_mov_b32 s1, 0
	s_lshl_b32 s0, s0, 9
	s_lshl_b64 s[8:9], s[0:1], 2
	s_lshl_b64 s[0:1], s[0:1], 1
	s_wait_kmcnt 0x0
	s_add_nc_u64 s[2:3], s[2:3], s[8:9]
	global_load_b128 v[2:5], v0, s[2:3] scale_offset
	s_wait_xcnt 0x0
	s_add_nc_u64 s[2:3], s[4:5], s[0:1]
	s_add_nc_u64 s[0:1], s[6:7], s[0:1]
	global_load_b64 v[6:7], v0, s[2:3] scale_offset
	s_wait_loadcnt 0x1
	v_dual_lshlrev_b32 v1, 1, v2 :: v_dual_lshlrev_b32 v2, 1, v3
	v_dual_lshlrev_b32 v3, 1, v4 :: v_dual_lshlrev_b32 v4, 1, v5
	v_lshlrev_b32_e32 v5, 1, v0
	s_wait_loadcnt 0x0
	ds_store_b16 v1, v6
	ds_store_b16_d16_hi v2, v6
	ds_store_b16 v3, v7
	ds_store_b16_d16_hi v4, v7
	s_wait_dscnt 0x0
	s_barrier_signal -1
	s_barrier_wait -1
	ds_load_u16 v1, v5
	ds_load_u16 v2, v5 offset:512
	ds_load_u16 v3, v5 offset:768
	;; [unrolled: 1-line block ×3, first 2 shown]
	s_wait_dscnt 0x1
	v_perm_b32 v3, v3, v2, 0x5040100
	s_wait_dscnt 0x0
	v_perm_b32 v2, v4, v1, 0x5040100
	global_store_b64 v0, v[2:3], s[0:1] scale_offset
	s_endpgm
	.section	.rodata,"a",@progbits
	.p2align	6, 0x0
	.amdhsa_kernel _Z25scatter_to_striped_kernelI6__halfS0_Lj512ELj4EEvPT_PT0_Pj
		.amdhsa_group_segment_fixed_size 1056
		.amdhsa_private_segment_fixed_size 0
		.amdhsa_kernarg_size 24
		.amdhsa_user_sgpr_count 2
		.amdhsa_user_sgpr_dispatch_ptr 0
		.amdhsa_user_sgpr_queue_ptr 0
		.amdhsa_user_sgpr_kernarg_segment_ptr 1
		.amdhsa_user_sgpr_dispatch_id 0
		.amdhsa_user_sgpr_kernarg_preload_length 0
		.amdhsa_user_sgpr_kernarg_preload_offset 0
		.amdhsa_user_sgpr_private_segment_size 0
		.amdhsa_wavefront_size32 1
		.amdhsa_uses_dynamic_stack 0
		.amdhsa_enable_private_segment 0
		.amdhsa_system_sgpr_workgroup_id_x 1
		.amdhsa_system_sgpr_workgroup_id_y 0
		.amdhsa_system_sgpr_workgroup_id_z 0
		.amdhsa_system_sgpr_workgroup_info 0
		.amdhsa_system_vgpr_workitem_id 0
		.amdhsa_next_free_vgpr 8
		.amdhsa_next_free_sgpr 10
		.amdhsa_named_barrier_count 0
		.amdhsa_reserve_vcc 0
		.amdhsa_float_round_mode_32 0
		.amdhsa_float_round_mode_16_64 0
		.amdhsa_float_denorm_mode_32 3
		.amdhsa_float_denorm_mode_16_64 3
		.amdhsa_fp16_overflow 0
		.amdhsa_memory_ordered 1
		.amdhsa_forward_progress 1
		.amdhsa_inst_pref_size 3
		.amdhsa_round_robin_scheduling 0
		.amdhsa_exception_fp_ieee_invalid_op 0
		.amdhsa_exception_fp_denorm_src 0
		.amdhsa_exception_fp_ieee_div_zero 0
		.amdhsa_exception_fp_ieee_overflow 0
		.amdhsa_exception_fp_ieee_underflow 0
		.amdhsa_exception_fp_ieee_inexact 0
		.amdhsa_exception_int_div_zero 0
	.end_amdhsa_kernel
	.section	.text._Z25scatter_to_striped_kernelI6__halfS0_Lj512ELj4EEvPT_PT0_Pj,"axG",@progbits,_Z25scatter_to_striped_kernelI6__halfS0_Lj512ELj4EEvPT_PT0_Pj,comdat
.Lfunc_end110:
	.size	_Z25scatter_to_striped_kernelI6__halfS0_Lj512ELj4EEvPT_PT0_Pj, .Lfunc_end110-_Z25scatter_to_striped_kernelI6__halfS0_Lj512ELj4EEvPT_PT0_Pj
                                        ; -- End function
	.set _Z25scatter_to_striped_kernelI6__halfS0_Lj512ELj4EEvPT_PT0_Pj.num_vgpr, 8
	.set _Z25scatter_to_striped_kernelI6__halfS0_Lj512ELj4EEvPT_PT0_Pj.num_agpr, 0
	.set _Z25scatter_to_striped_kernelI6__halfS0_Lj512ELj4EEvPT_PT0_Pj.numbered_sgpr, 10
	.set _Z25scatter_to_striped_kernelI6__halfS0_Lj512ELj4EEvPT_PT0_Pj.num_named_barrier, 0
	.set _Z25scatter_to_striped_kernelI6__halfS0_Lj512ELj4EEvPT_PT0_Pj.private_seg_size, 0
	.set _Z25scatter_to_striped_kernelI6__halfS0_Lj512ELj4EEvPT_PT0_Pj.uses_vcc, 0
	.set _Z25scatter_to_striped_kernelI6__halfS0_Lj512ELj4EEvPT_PT0_Pj.uses_flat_scratch, 0
	.set _Z25scatter_to_striped_kernelI6__halfS0_Lj512ELj4EEvPT_PT0_Pj.has_dyn_sized_stack, 0
	.set _Z25scatter_to_striped_kernelI6__halfS0_Lj512ELj4EEvPT_PT0_Pj.has_recursion, 0
	.set _Z25scatter_to_striped_kernelI6__halfS0_Lj512ELj4EEvPT_PT0_Pj.has_indirect_call, 0
	.section	.AMDGPU.csdata,"",@progbits
; Kernel info:
; codeLenInByte = 284
; TotalNumSgprs: 10
; NumVgprs: 8
; ScratchSize: 0
; MemoryBound: 0
; FloatMode: 240
; IeeeMode: 1
; LDSByteSize: 1056 bytes/workgroup (compile time only)
; SGPRBlocks: 0
; VGPRBlocks: 0
; NumSGPRsForWavesPerEU: 10
; NumVGPRsForWavesPerEU: 8
; NamedBarCnt: 0
; Occupancy: 16
; WaveLimiterHint : 0
; COMPUTE_PGM_RSRC2:SCRATCH_EN: 0
; COMPUTE_PGM_RSRC2:USER_SGPR: 2
; COMPUTE_PGM_RSRC2:TRAP_HANDLER: 0
; COMPUTE_PGM_RSRC2:TGID_X_EN: 1
; COMPUTE_PGM_RSRC2:TGID_Y_EN: 0
; COMPUTE_PGM_RSRC2:TGID_Z_EN: 0
; COMPUTE_PGM_RSRC2:TIDIG_COMP_CNT: 0
	.section	.text._Z25scatter_to_striped_kernelI12hip_bfloat16S0_Lj512ELj4EEvPT_PT0_Pj,"axG",@progbits,_Z25scatter_to_striped_kernelI12hip_bfloat16S0_Lj512ELj4EEvPT_PT0_Pj,comdat
	.protected	_Z25scatter_to_striped_kernelI12hip_bfloat16S0_Lj512ELj4EEvPT_PT0_Pj ; -- Begin function _Z25scatter_to_striped_kernelI12hip_bfloat16S0_Lj512ELj4EEvPT_PT0_Pj
	.globl	_Z25scatter_to_striped_kernelI12hip_bfloat16S0_Lj512ELj4EEvPT_PT0_Pj
	.p2align	8
	.type	_Z25scatter_to_striped_kernelI12hip_bfloat16S0_Lj512ELj4EEvPT_PT0_Pj,@function
_Z25scatter_to_striped_kernelI12hip_bfloat16S0_Lj512ELj4EEvPT_PT0_Pj: ; @_Z25scatter_to_striped_kernelI12hip_bfloat16S0_Lj512ELj4EEvPT_PT0_Pj
; %bb.0:
	s_clause 0x1
	s_load_b64 s[2:3], s[0:1], 0x10
	s_load_b128 s[4:7], s[0:1], 0x0
	s_wait_xcnt 0x0
	s_bfe_u32 s0, ttmp6, 0x4000c
	s_and_b32 s1, ttmp6, 15
	s_add_co_i32 s0, s0, 1
	s_getreg_b32 s8, hwreg(HW_REG_IB_STS2, 6, 4)
	s_mul_i32 s0, ttmp9, s0
	s_delay_alu instid0(SALU_CYCLE_1) | instskip(SKIP_4) | instid1(SALU_CYCLE_1)
	s_add_co_i32 s1, s1, s0
	s_cmp_eq_u32 s8, 0
	s_cselect_b32 s0, ttmp9, s1
	s_mov_b32 s1, 0
	s_lshl_b32 s0, s0, 9
	s_lshl_b64 s[8:9], s[0:1], 2
	s_lshl_b64 s[0:1], s[0:1], 1
	s_wait_kmcnt 0x0
	s_add_nc_u64 s[2:3], s[2:3], s[8:9]
	global_load_b128 v[2:5], v0, s[2:3] scale_offset
	s_wait_xcnt 0x0
	s_add_nc_u64 s[2:3], s[4:5], s[0:1]
	s_add_nc_u64 s[0:1], s[6:7], s[0:1]
	global_load_b64 v[6:7], v0, s[2:3] scale_offset
	s_wait_loadcnt 0x1
	v_dual_lshlrev_b32 v1, 1, v2 :: v_dual_lshlrev_b32 v2, 1, v3
	v_dual_lshlrev_b32 v3, 1, v4 :: v_dual_lshlrev_b32 v4, 1, v5
	v_lshlrev_b32_e32 v5, 1, v0
	s_wait_loadcnt 0x0
	ds_store_b16 v1, v6
	ds_store_b16_d16_hi v2, v6
	ds_store_b16 v3, v7
	ds_store_b16_d16_hi v4, v7
	s_wait_dscnt 0x0
	s_barrier_signal -1
	s_barrier_wait -1
	ds_load_u16 v1, v5
	ds_load_u16 v2, v5 offset:512
	ds_load_u16 v3, v5 offset:768
	;; [unrolled: 1-line block ×3, first 2 shown]
	s_wait_dscnt 0x1
	v_perm_b32 v3, v3, v2, 0x5040100
	s_wait_dscnt 0x0
	v_perm_b32 v2, v4, v1, 0x5040100
	global_store_b64 v0, v[2:3], s[0:1] scale_offset
	s_endpgm
	.section	.rodata,"a",@progbits
	.p2align	6, 0x0
	.amdhsa_kernel _Z25scatter_to_striped_kernelI12hip_bfloat16S0_Lj512ELj4EEvPT_PT0_Pj
		.amdhsa_group_segment_fixed_size 1056
		.amdhsa_private_segment_fixed_size 0
		.amdhsa_kernarg_size 24
		.amdhsa_user_sgpr_count 2
		.amdhsa_user_sgpr_dispatch_ptr 0
		.amdhsa_user_sgpr_queue_ptr 0
		.amdhsa_user_sgpr_kernarg_segment_ptr 1
		.amdhsa_user_sgpr_dispatch_id 0
		.amdhsa_user_sgpr_kernarg_preload_length 0
		.amdhsa_user_sgpr_kernarg_preload_offset 0
		.amdhsa_user_sgpr_private_segment_size 0
		.amdhsa_wavefront_size32 1
		.amdhsa_uses_dynamic_stack 0
		.amdhsa_enable_private_segment 0
		.amdhsa_system_sgpr_workgroup_id_x 1
		.amdhsa_system_sgpr_workgroup_id_y 0
		.amdhsa_system_sgpr_workgroup_id_z 0
		.amdhsa_system_sgpr_workgroup_info 0
		.amdhsa_system_vgpr_workitem_id 0
		.amdhsa_next_free_vgpr 8
		.amdhsa_next_free_sgpr 10
		.amdhsa_named_barrier_count 0
		.amdhsa_reserve_vcc 0
		.amdhsa_float_round_mode_32 0
		.amdhsa_float_round_mode_16_64 0
		.amdhsa_float_denorm_mode_32 3
		.amdhsa_float_denorm_mode_16_64 3
		.amdhsa_fp16_overflow 0
		.amdhsa_memory_ordered 1
		.amdhsa_forward_progress 1
		.amdhsa_inst_pref_size 3
		.amdhsa_round_robin_scheduling 0
		.amdhsa_exception_fp_ieee_invalid_op 0
		.amdhsa_exception_fp_denorm_src 0
		.amdhsa_exception_fp_ieee_div_zero 0
		.amdhsa_exception_fp_ieee_overflow 0
		.amdhsa_exception_fp_ieee_underflow 0
		.amdhsa_exception_fp_ieee_inexact 0
		.amdhsa_exception_int_div_zero 0
	.end_amdhsa_kernel
	.section	.text._Z25scatter_to_striped_kernelI12hip_bfloat16S0_Lj512ELj4EEvPT_PT0_Pj,"axG",@progbits,_Z25scatter_to_striped_kernelI12hip_bfloat16S0_Lj512ELj4EEvPT_PT0_Pj,comdat
.Lfunc_end111:
	.size	_Z25scatter_to_striped_kernelI12hip_bfloat16S0_Lj512ELj4EEvPT_PT0_Pj, .Lfunc_end111-_Z25scatter_to_striped_kernelI12hip_bfloat16S0_Lj512ELj4EEvPT_PT0_Pj
                                        ; -- End function
	.set _Z25scatter_to_striped_kernelI12hip_bfloat16S0_Lj512ELj4EEvPT_PT0_Pj.num_vgpr, 8
	.set _Z25scatter_to_striped_kernelI12hip_bfloat16S0_Lj512ELj4EEvPT_PT0_Pj.num_agpr, 0
	.set _Z25scatter_to_striped_kernelI12hip_bfloat16S0_Lj512ELj4EEvPT_PT0_Pj.numbered_sgpr, 10
	.set _Z25scatter_to_striped_kernelI12hip_bfloat16S0_Lj512ELj4EEvPT_PT0_Pj.num_named_barrier, 0
	.set _Z25scatter_to_striped_kernelI12hip_bfloat16S0_Lj512ELj4EEvPT_PT0_Pj.private_seg_size, 0
	.set _Z25scatter_to_striped_kernelI12hip_bfloat16S0_Lj512ELj4EEvPT_PT0_Pj.uses_vcc, 0
	.set _Z25scatter_to_striped_kernelI12hip_bfloat16S0_Lj512ELj4EEvPT_PT0_Pj.uses_flat_scratch, 0
	.set _Z25scatter_to_striped_kernelI12hip_bfloat16S0_Lj512ELj4EEvPT_PT0_Pj.has_dyn_sized_stack, 0
	.set _Z25scatter_to_striped_kernelI12hip_bfloat16S0_Lj512ELj4EEvPT_PT0_Pj.has_recursion, 0
	.set _Z25scatter_to_striped_kernelI12hip_bfloat16S0_Lj512ELj4EEvPT_PT0_Pj.has_indirect_call, 0
	.section	.AMDGPU.csdata,"",@progbits
; Kernel info:
; codeLenInByte = 284
; TotalNumSgprs: 10
; NumVgprs: 8
; ScratchSize: 0
; MemoryBound: 0
; FloatMode: 240
; IeeeMode: 1
; LDSByteSize: 1056 bytes/workgroup (compile time only)
; SGPRBlocks: 0
; VGPRBlocks: 0
; NumSGPRsForWavesPerEU: 10
; NumVGPRsForWavesPerEU: 8
; NamedBarCnt: 0
; Occupancy: 16
; WaveLimiterHint : 0
; COMPUTE_PGM_RSRC2:SCRATCH_EN: 0
; COMPUTE_PGM_RSRC2:USER_SGPR: 2
; COMPUTE_PGM_RSRC2:TRAP_HANDLER: 0
; COMPUTE_PGM_RSRC2:TGID_X_EN: 1
; COMPUTE_PGM_RSRC2:TGID_Y_EN: 0
; COMPUTE_PGM_RSRC2:TGID_Z_EN: 0
; COMPUTE_PGM_RSRC2:TIDIG_COMP_CNT: 0
	.section	.text._Z25scatter_to_striped_kernelIfdLj512ELj4EEvPT_PT0_Pj,"axG",@progbits,_Z25scatter_to_striped_kernelIfdLj512ELj4EEvPT_PT0_Pj,comdat
	.protected	_Z25scatter_to_striped_kernelIfdLj512ELj4EEvPT_PT0_Pj ; -- Begin function _Z25scatter_to_striped_kernelIfdLj512ELj4EEvPT_PT0_Pj
	.globl	_Z25scatter_to_striped_kernelIfdLj512ELj4EEvPT_PT0_Pj
	.p2align	8
	.type	_Z25scatter_to_striped_kernelIfdLj512ELj4EEvPT_PT0_Pj,@function
_Z25scatter_to_striped_kernelIfdLj512ELj4EEvPT_PT0_Pj: ; @_Z25scatter_to_striped_kernelIfdLj512ELj4EEvPT_PT0_Pj
; %bb.0:
	s_clause 0x1
	s_load_b64 s[2:3], s[0:1], 0x10
	s_load_b128 s[4:7], s[0:1], 0x0
	s_wait_xcnt 0x0
	s_bfe_u32 s0, ttmp6, 0x4000c
	s_and_b32 s1, ttmp6, 15
	s_add_co_i32 s0, s0, 1
	s_getreg_b32 s8, hwreg(HW_REG_IB_STS2, 6, 4)
	s_mul_i32 s0, ttmp9, s0
	v_lshlrev_b32_e32 v10, 2, v0
	s_add_co_i32 s1, s1, s0
	s_cmp_eq_u32 s8, 0
	s_cselect_b32 s0, ttmp9, s1
	s_mov_b32 s1, 0
	s_lshl_b32 s0, s0, 9
	s_delay_alu instid0(SALU_CYCLE_1)
	s_lshl_b64 s[8:9], s[0:1], 2
	s_lshl_b64 s[0:1], s[0:1], 3
	s_wait_kmcnt 0x0
	s_add_nc_u64 s[2:3], s[2:3], s[8:9]
	s_add_nc_u64 s[0:1], s[6:7], s[0:1]
	global_load_b128 v[2:5], v0, s[2:3] scale_offset
	s_wait_xcnt 0x0
	s_add_nc_u64 s[2:3], s[4:5], s[8:9]
	global_load_b128 v[6:9], v0, s[2:3] scale_offset
	s_wait_loadcnt 0x1
	s_wait_xcnt 0x0
	v_dual_lshlrev_b32 v0, 5, v0 :: v_dual_lshlrev_b32 v1, 2, v2
	v_dual_lshlrev_b32 v2, 2, v3 :: v_dual_lshlrev_b32 v3, 2, v4
	v_lshlrev_b32_e32 v4, 2, v5
	s_wait_loadcnt 0x0
	ds_store_b32 v1, v6
	ds_store_b32 v2, v7
	;; [unrolled: 1-line block ×4, first 2 shown]
	s_wait_dscnt 0x0
	s_barrier_signal -1
	s_barrier_wait -1
	ds_load_2addr_stride64_b32 v[4:5], v10 offset1:2
	ds_load_2addr_stride64_b32 v[8:9], v10 offset0:4 offset1:6
	s_wait_dscnt 0x1
	v_cvt_f64_f32_e32 v[2:3], v4
	v_cvt_f64_f32_e32 v[4:5], v5
	s_wait_dscnt 0x0
	v_cvt_f64_f32_e32 v[6:7], v8
	v_cvt_f64_f32_e32 v[8:9], v9
	s_clause 0x1
	global_store_b128 v0, v[2:5], s[0:1]
	global_store_b128 v0, v[6:9], s[0:1] offset:16
	s_endpgm
	.section	.rodata,"a",@progbits
	.p2align	6, 0x0
	.amdhsa_kernel _Z25scatter_to_striped_kernelIfdLj512ELj4EEvPT_PT0_Pj
		.amdhsa_group_segment_fixed_size 2112
		.amdhsa_private_segment_fixed_size 0
		.amdhsa_kernarg_size 24
		.amdhsa_user_sgpr_count 2
		.amdhsa_user_sgpr_dispatch_ptr 0
		.amdhsa_user_sgpr_queue_ptr 0
		.amdhsa_user_sgpr_kernarg_segment_ptr 1
		.amdhsa_user_sgpr_dispatch_id 0
		.amdhsa_user_sgpr_kernarg_preload_length 0
		.amdhsa_user_sgpr_kernarg_preload_offset 0
		.amdhsa_user_sgpr_private_segment_size 0
		.amdhsa_wavefront_size32 1
		.amdhsa_uses_dynamic_stack 0
		.amdhsa_enable_private_segment 0
		.amdhsa_system_sgpr_workgroup_id_x 1
		.amdhsa_system_sgpr_workgroup_id_y 0
		.amdhsa_system_sgpr_workgroup_id_z 0
		.amdhsa_system_sgpr_workgroup_info 0
		.amdhsa_system_vgpr_workitem_id 0
		.amdhsa_next_free_vgpr 11
		.amdhsa_next_free_sgpr 10
		.amdhsa_named_barrier_count 0
		.amdhsa_reserve_vcc 0
		.amdhsa_float_round_mode_32 0
		.amdhsa_float_round_mode_16_64 0
		.amdhsa_float_denorm_mode_32 3
		.amdhsa_float_denorm_mode_16_64 3
		.amdhsa_fp16_overflow 0
		.amdhsa_memory_ordered 1
		.amdhsa_forward_progress 1
		.amdhsa_inst_pref_size 3
		.amdhsa_round_robin_scheduling 0
		.amdhsa_exception_fp_ieee_invalid_op 0
		.amdhsa_exception_fp_denorm_src 0
		.amdhsa_exception_fp_ieee_div_zero 0
		.amdhsa_exception_fp_ieee_overflow 0
		.amdhsa_exception_fp_ieee_underflow 0
		.amdhsa_exception_fp_ieee_inexact 0
		.amdhsa_exception_int_div_zero 0
	.end_amdhsa_kernel
	.section	.text._Z25scatter_to_striped_kernelIfdLj512ELj4EEvPT_PT0_Pj,"axG",@progbits,_Z25scatter_to_striped_kernelIfdLj512ELj4EEvPT_PT0_Pj,comdat
.Lfunc_end112:
	.size	_Z25scatter_to_striped_kernelIfdLj512ELj4EEvPT_PT0_Pj, .Lfunc_end112-_Z25scatter_to_striped_kernelIfdLj512ELj4EEvPT_PT0_Pj
                                        ; -- End function
	.set _Z25scatter_to_striped_kernelIfdLj512ELj4EEvPT_PT0_Pj.num_vgpr, 11
	.set _Z25scatter_to_striped_kernelIfdLj512ELj4EEvPT_PT0_Pj.num_agpr, 0
	.set _Z25scatter_to_striped_kernelIfdLj512ELj4EEvPT_PT0_Pj.numbered_sgpr, 10
	.set _Z25scatter_to_striped_kernelIfdLj512ELj4EEvPT_PT0_Pj.num_named_barrier, 0
	.set _Z25scatter_to_striped_kernelIfdLj512ELj4EEvPT_PT0_Pj.private_seg_size, 0
	.set _Z25scatter_to_striped_kernelIfdLj512ELj4EEvPT_PT0_Pj.uses_vcc, 0
	.set _Z25scatter_to_striped_kernelIfdLj512ELj4EEvPT_PT0_Pj.uses_flat_scratch, 0
	.set _Z25scatter_to_striped_kernelIfdLj512ELj4EEvPT_PT0_Pj.has_dyn_sized_stack, 0
	.set _Z25scatter_to_striped_kernelIfdLj512ELj4EEvPT_PT0_Pj.has_recursion, 0
	.set _Z25scatter_to_striped_kernelIfdLj512ELj4EEvPT_PT0_Pj.has_indirect_call, 0
	.section	.AMDGPU.csdata,"",@progbits
; Kernel info:
; codeLenInByte = 284
; TotalNumSgprs: 10
; NumVgprs: 11
; ScratchSize: 0
; MemoryBound: 0
; FloatMode: 240
; IeeeMode: 1
; LDSByteSize: 2112 bytes/workgroup (compile time only)
; SGPRBlocks: 0
; VGPRBlocks: 0
; NumSGPRsForWavesPerEU: 10
; NumVGPRsForWavesPerEU: 11
; NamedBarCnt: 0
; Occupancy: 16
; WaveLimiterHint : 0
; COMPUTE_PGM_RSRC2:SCRATCH_EN: 0
; COMPUTE_PGM_RSRC2:USER_SGPR: 2
; COMPUTE_PGM_RSRC2:TRAP_HANDLER: 0
; COMPUTE_PGM_RSRC2:TGID_X_EN: 1
; COMPUTE_PGM_RSRC2:TGID_Y_EN: 0
; COMPUTE_PGM_RSRC2:TGID_Z_EN: 0
; COMPUTE_PGM_RSRC2:TIDIG_COMP_CNT: 0
	.section	.text._Z25scatter_to_striped_kernelIiiLj512ELj4EEvPT_PT0_Pj,"axG",@progbits,_Z25scatter_to_striped_kernelIiiLj512ELj4EEvPT_PT0_Pj,comdat
	.protected	_Z25scatter_to_striped_kernelIiiLj512ELj4EEvPT_PT0_Pj ; -- Begin function _Z25scatter_to_striped_kernelIiiLj512ELj4EEvPT_PT0_Pj
	.globl	_Z25scatter_to_striped_kernelIiiLj512ELj4EEvPT_PT0_Pj
	.p2align	8
	.type	_Z25scatter_to_striped_kernelIiiLj512ELj4EEvPT_PT0_Pj,@function
_Z25scatter_to_striped_kernelIiiLj512ELj4EEvPT_PT0_Pj: ; @_Z25scatter_to_striped_kernelIiiLj512ELj4EEvPT_PT0_Pj
; %bb.0:
	s_clause 0x1
	s_load_b64 s[2:3], s[0:1], 0x10
	s_load_b128 s[4:7], s[0:1], 0x0
	s_wait_xcnt 0x0
	s_bfe_u32 s0, ttmp6, 0x4000c
	s_and_b32 s1, ttmp6, 15
	s_add_co_i32 s0, s0, 1
	s_getreg_b32 s8, hwreg(HW_REG_IB_STS2, 6, 4)
	s_mul_i32 s0, ttmp9, s0
	s_delay_alu instid0(SALU_CYCLE_1) | instskip(SKIP_4) | instid1(SALU_CYCLE_1)
	s_add_co_i32 s1, s1, s0
	s_cmp_eq_u32 s8, 0
	s_cselect_b32 s0, ttmp9, s1
	s_mov_b32 s1, 0
	s_lshl_b32 s0, s0, 9
	s_lshl_b64 s[0:1], s[0:1], 2
	s_wait_kmcnt 0x0
	s_add_nc_u64 s[2:3], s[2:3], s[0:1]
	global_load_b128 v[2:5], v0, s[2:3] scale_offset
	s_wait_xcnt 0x0
	s_add_nc_u64 s[2:3], s[4:5], s[0:1]
	s_add_nc_u64 s[0:1], s[6:7], s[0:1]
	global_load_b128 v[6:9], v0, s[2:3] scale_offset
	s_wait_loadcnt 0x1
	v_dual_lshlrev_b32 v1, 2, v2 :: v_dual_lshlrev_b32 v2, 2, v3
	v_dual_lshlrev_b32 v3, 2, v4 :: v_dual_lshlrev_b32 v4, 2, v5
	v_lshlrev_b32_e32 v5, 2, v0
	s_wait_loadcnt 0x0
	ds_store_b32 v1, v6
	ds_store_b32 v2, v7
	;; [unrolled: 1-line block ×4, first 2 shown]
	s_wait_dscnt 0x0
	s_barrier_signal -1
	s_barrier_wait -1
	ds_load_2addr_stride64_b32 v[2:3], v5 offset1:2
	ds_load_2addr_stride64_b32 v[4:5], v5 offset0:4 offset1:6
	s_wait_dscnt 0x0
	global_store_b128 v0, v[2:5], s[0:1] scale_offset
	s_endpgm
	.section	.rodata,"a",@progbits
	.p2align	6, 0x0
	.amdhsa_kernel _Z25scatter_to_striped_kernelIiiLj512ELj4EEvPT_PT0_Pj
		.amdhsa_group_segment_fixed_size 2112
		.amdhsa_private_segment_fixed_size 0
		.amdhsa_kernarg_size 24
		.amdhsa_user_sgpr_count 2
		.amdhsa_user_sgpr_dispatch_ptr 0
		.amdhsa_user_sgpr_queue_ptr 0
		.amdhsa_user_sgpr_kernarg_segment_ptr 1
		.amdhsa_user_sgpr_dispatch_id 0
		.amdhsa_user_sgpr_kernarg_preload_length 0
		.amdhsa_user_sgpr_kernarg_preload_offset 0
		.amdhsa_user_sgpr_private_segment_size 0
		.amdhsa_wavefront_size32 1
		.amdhsa_uses_dynamic_stack 0
		.amdhsa_enable_private_segment 0
		.amdhsa_system_sgpr_workgroup_id_x 1
		.amdhsa_system_sgpr_workgroup_id_y 0
		.amdhsa_system_sgpr_workgroup_id_z 0
		.amdhsa_system_sgpr_workgroup_info 0
		.amdhsa_system_vgpr_workitem_id 0
		.amdhsa_next_free_vgpr 10
		.amdhsa_next_free_sgpr 9
		.amdhsa_named_barrier_count 0
		.amdhsa_reserve_vcc 0
		.amdhsa_float_round_mode_32 0
		.amdhsa_float_round_mode_16_64 0
		.amdhsa_float_denorm_mode_32 3
		.amdhsa_float_denorm_mode_16_64 3
		.amdhsa_fp16_overflow 0
		.amdhsa_memory_ordered 1
		.amdhsa_forward_progress 1
		.amdhsa_inst_pref_size 2
		.amdhsa_round_robin_scheduling 0
		.amdhsa_exception_fp_ieee_invalid_op 0
		.amdhsa_exception_fp_denorm_src 0
		.amdhsa_exception_fp_ieee_div_zero 0
		.amdhsa_exception_fp_ieee_overflow 0
		.amdhsa_exception_fp_ieee_underflow 0
		.amdhsa_exception_fp_ieee_inexact 0
		.amdhsa_exception_int_div_zero 0
	.end_amdhsa_kernel
	.section	.text._Z25scatter_to_striped_kernelIiiLj512ELj4EEvPT_PT0_Pj,"axG",@progbits,_Z25scatter_to_striped_kernelIiiLj512ELj4EEvPT_PT0_Pj,comdat
.Lfunc_end113:
	.size	_Z25scatter_to_striped_kernelIiiLj512ELj4EEvPT_PT0_Pj, .Lfunc_end113-_Z25scatter_to_striped_kernelIiiLj512ELj4EEvPT_PT0_Pj
                                        ; -- End function
	.set _Z25scatter_to_striped_kernelIiiLj512ELj4EEvPT_PT0_Pj.num_vgpr, 10
	.set _Z25scatter_to_striped_kernelIiiLj512ELj4EEvPT_PT0_Pj.num_agpr, 0
	.set _Z25scatter_to_striped_kernelIiiLj512ELj4EEvPT_PT0_Pj.numbered_sgpr, 9
	.set _Z25scatter_to_striped_kernelIiiLj512ELj4EEvPT_PT0_Pj.num_named_barrier, 0
	.set _Z25scatter_to_striped_kernelIiiLj512ELj4EEvPT_PT0_Pj.private_seg_size, 0
	.set _Z25scatter_to_striped_kernelIiiLj512ELj4EEvPT_PT0_Pj.uses_vcc, 0
	.set _Z25scatter_to_striped_kernelIiiLj512ELj4EEvPT_PT0_Pj.uses_flat_scratch, 0
	.set _Z25scatter_to_striped_kernelIiiLj512ELj4EEvPT_PT0_Pj.has_dyn_sized_stack, 0
	.set _Z25scatter_to_striped_kernelIiiLj512ELj4EEvPT_PT0_Pj.has_recursion, 0
	.set _Z25scatter_to_striped_kernelIiiLj512ELj4EEvPT_PT0_Pj.has_indirect_call, 0
	.section	.AMDGPU.csdata,"",@progbits
; Kernel info:
; codeLenInByte = 236
; TotalNumSgprs: 9
; NumVgprs: 10
; ScratchSize: 0
; MemoryBound: 0
; FloatMode: 240
; IeeeMode: 1
; LDSByteSize: 2112 bytes/workgroup (compile time only)
; SGPRBlocks: 0
; VGPRBlocks: 0
; NumSGPRsForWavesPerEU: 9
; NumVGPRsForWavesPerEU: 10
; NamedBarCnt: 0
; Occupancy: 16
; WaveLimiterHint : 0
; COMPUTE_PGM_RSRC2:SCRATCH_EN: 0
; COMPUTE_PGM_RSRC2:USER_SGPR: 2
; COMPUTE_PGM_RSRC2:TRAP_HANDLER: 0
; COMPUTE_PGM_RSRC2:TGID_X_EN: 1
; COMPUTE_PGM_RSRC2:TGID_Y_EN: 0
; COMPUTE_PGM_RSRC2:TGID_Z_EN: 0
; COMPUTE_PGM_RSRC2:TIDIG_COMP_CNT: 0
	.section	.AMDGPU.gpr_maximums,"",@progbits
	.set amdgpu.max_num_vgpr, 0
	.set amdgpu.max_num_agpr, 0
	.set amdgpu.max_num_sgpr, 0
	.section	.AMDGPU.csdata,"",@progbits
	.type	__hip_cuid_7b970165a2b7f92f,@object ; @__hip_cuid_7b970165a2b7f92f
	.section	.bss,"aw",@nobits
	.globl	__hip_cuid_7b970165a2b7f92f
__hip_cuid_7b970165a2b7f92f:
	.byte	0                               ; 0x0
	.size	__hip_cuid_7b970165a2b7f92f, 1

	.ident	"AMD clang version 22.0.0git (https://github.com/RadeonOpenCompute/llvm-project roc-7.2.4 26084 f58b06dce1f9c15707c5f808fd002e18c2accf7e)"
	.section	".note.GNU-stack","",@progbits
	.addrsig
	.addrsig_sym __hip_cuid_7b970165a2b7f92f
	.amdgpu_metadata
---
amdhsa.kernels:
  - .args:
      - .address_space:  global
        .offset:         0
        .size:           8
        .value_kind:     global_buffer
      - .address_space:  global
        .offset:         8
        .size:           8
        .value_kind:     global_buffer
    .group_segment_fixed_size: 4224
    .kernarg_segment_align: 8
    .kernarg_segment_size: 16
    .language:       OpenCL C
    .language_version:
      - 2
      - 0
    .max_flat_workgroup_size: 512
    .name:           _Z25blocked_to_striped_kernelIsiLj2106ELj9EEvPT_PT0_
    .private_segment_fixed_size: 0
    .sgpr_count:     8
    .sgpr_spill_count: 0
    .symbol:         _Z25blocked_to_striped_kernelIsiLj2106ELj9EEvPT_PT0_.kd
    .uniform_work_group_size: 1
    .uses_dynamic_stack: false
    .vgpr_count:     11
    .vgpr_spill_count: 0
    .wavefront_size: 32
  - .args:
      - .address_space:  global
        .offset:         0
        .size:           8
        .value_kind:     global_buffer
      - .address_space:  global
        .offset:         8
        .size:           8
        .value_kind:     global_buffer
    .group_segment_fixed_size: 608
    .kernarg_segment_align: 8
    .kernarg_segment_size: 16
    .language:       OpenCL C
    .language_version:
      - 2
      - 0
    .max_flat_workgroup_size: 512
    .name:           _Z25blocked_to_striped_kernelItjLj300ELj3EEvPT_PT0_
    .private_segment_fixed_size: 0
    .sgpr_count:     8
    .sgpr_spill_count: 0
    .symbol:         _Z25blocked_to_striped_kernelItjLj300ELj3EEvPT_PT0_.kd
    .uniform_work_group_size: 1
    .uses_dynamic_stack: false
    .vgpr_count:     6
    .vgpr_spill_count: 0
    .wavefront_size: 32
  - .args:
      - .address_space:  global
        .offset:         0
        .size:           8
        .value_kind:     global_buffer
      - .address_space:  global
        .offset:         8
        .size:           8
        .value_kind:     global_buffer
    .group_segment_fixed_size: 960
    .kernarg_segment_align: 8
    .kernarg_segment_size: 16
    .language:       OpenCL C
    .language_version:
      - 2
      - 0
    .max_flat_workgroup_size: 512
    .name:           _Z25blocked_to_striped_kernelIc5dummyIdELj928ELj2EEvPT_PT0_
    .private_segment_fixed_size: 0
    .sgpr_count:     7
    .sgpr_spill_count: 0
    .symbol:         _Z25blocked_to_striped_kernelIc5dummyIdELj928ELj2EEvPT_PT0_.kd
    .uniform_work_group_size: 1
    .uses_dynamic_stack: false
    .vgpr_count:     10
    .vgpr_spill_count: 0
    .wavefront_size: 32
  - .args:
      - .address_space:  global
        .offset:         0
        .size:           8
        .value_kind:     global_buffer
      - .address_space:  global
        .offset:         8
        .size:           8
        .value_kind:     global_buffer
    .group_segment_fixed_size: 672
    .kernarg_segment_align: 8
    .kernarg_segment_size: 16
    .language:       OpenCL C
    .language_version:
      - 2
      - 0
    .max_flat_workgroup_size: 512
    .name:           _Z25blocked_to_striped_kernelIfiLj165ELj5EEvPT_PT0_
    .private_segment_fixed_size: 0
    .sgpr_count:     7
    .sgpr_spill_count: 0
    .symbol:         _Z25blocked_to_striped_kernelIfiLj165ELj5EEvPT_PT0_.kd
    .uniform_work_group_size: 1
    .uses_dynamic_stack: false
    .vgpr_count:     9
    .vgpr_spill_count: 0
    .wavefront_size: 32
  - .args:
      - .address_space:  global
        .offset:         0
        .size:           8
        .value_kind:     global_buffer
      - .address_space:  global
        .offset:         8
        .size:           8
        .value_kind:     global_buffer
    .group_segment_fixed_size: 672
    .kernarg_segment_align: 8
    .kernarg_segment_size: 16
    .language:       OpenCL C
    .language_version:
      - 2
      - 0
    .max_flat_workgroup_size: 512
    .name:           _Z25blocked_to_striped_kernelIidLj165ELj5EEvPT_PT0_
    .private_segment_fixed_size: 0
    .sgpr_count:     8
    .sgpr_spill_count: 0
    .symbol:         _Z25blocked_to_striped_kernelIidLj165ELj5EEvPT_PT0_.kd
    .uniform_work_group_size: 1
    .uses_dynamic_stack: false
    .vgpr_count:     12
    .vgpr_spill_count: 0
    .wavefront_size: 32
  - .args:
      - .address_space:  global
        .offset:         0
        .size:           8
        .value_kind:     global_buffer
      - .address_space:  global
        .offset:         8
        .size:           8
        .value_kind:     global_buffer
    .group_segment_fixed_size: 1536
    .kernarg_segment_align: 8
    .kernarg_segment_size: 16
    .language:       OpenCL C
    .language_version:
      - 2
      - 0
    .max_flat_workgroup_size: 512
    .name:           _Z25blocked_to_striped_kernelIyyLj192ELj3EEvPT_PT0_
    .private_segment_fixed_size: 0
    .sgpr_count:     7
    .sgpr_spill_count: 0
    .symbol:         _Z25blocked_to_striped_kernelIyyLj192ELj3EEvPT_PT0_.kd
    .uniform_work_group_size: 1
    .uses_dynamic_stack: false
    .vgpr_count:     11
    .vgpr_spill_count: 0
    .wavefront_size: 32
  - .args:
      - .address_space:  global
        .offset:         0
        .size:           8
        .value_kind:     global_buffer
      - .address_space:  global
        .offset:         8
        .size:           8
        .value_kind:     global_buffer
    .group_segment_fixed_size: 1536
    .kernarg_segment_align: 8
    .kernarg_segment_size: 16
    .language:       OpenCL C
    .language_version:
      - 2
      - 0
    .max_flat_workgroup_size: 512
    .name:           _Z25blocked_to_striped_kernelIiiLj384ELj3EEvPT_PT0_
    .private_segment_fixed_size: 0
    .sgpr_count:     7
    .sgpr_spill_count: 0
    .symbol:         _Z25blocked_to_striped_kernelIiiLj384ELj3EEvPT_PT0_.kd
    .uniform_work_group_size: 1
    .uses_dynamic_stack: false
    .vgpr_count:     7
    .vgpr_spill_count: 0
    .wavefront_size: 32
  - .args:
      - .address_space:  global
        .offset:         0
        .size:           8
        .value_kind:     global_buffer
      - .address_space:  global
        .offset:         8
        .size:           8
        .value_kind:     global_buffer
    .group_segment_fixed_size: 1792
    .kernarg_segment_align: 8
    .kernarg_segment_size: 16
    .language:       OpenCL C
    .language_version:
      - 2
      - 0
    .max_flat_workgroup_size: 512
    .name:           _Z25blocked_to_striped_kernelIs5dummyIfELj896ELj7EEvPT_PT0_
    .private_segment_fixed_size: 0
    .sgpr_count:     8
    .sgpr_spill_count: 0
    .symbol:         _Z25blocked_to_striped_kernelIs5dummyIfELj896ELj7EEvPT_PT0_.kd
    .uniform_work_group_size: 1
    .uses_dynamic_stack: false
    .vgpr_count:     21
    .vgpr_spill_count: 0
    .wavefront_size: 32
  - .args:
      - .address_space:  global
        .offset:         0
        .size:           8
        .value_kind:     global_buffer
      - .address_space:  global
        .offset:         8
        .size:           8
        .value_kind:     global_buffer
    .group_segment_fixed_size: 10240
    .kernarg_segment_align: 8
    .kernarg_segment_size: 16
    .language:       OpenCL C
    .language_version:
      - 2
      - 0
    .max_flat_workgroup_size: 512
    .name:           _Z25blocked_to_striped_kernelIiiLj2560ELj5EEvPT_PT0_
    .private_segment_fixed_size: 0
    .sgpr_count:     7
    .sgpr_spill_count: 0
    .symbol:         _Z25blocked_to_striped_kernelIiiLj2560ELj5EEvPT_PT0_.kd
    .uniform_work_group_size: 1
    .uses_dynamic_stack: false
    .vgpr_count:     9
    .vgpr_spill_count: 0
    .wavefront_size: 32
  - .args:
      - .address_space:  global
        .offset:         0
        .size:           8
        .value_kind:     global_buffer
      - .address_space:  global
        .offset:         8
        .size:           8
        .value_kind:     global_buffer
    .group_segment_fixed_size: 8448
    .kernarg_segment_align: 8
    .kernarg_segment_size: 16
    .language:       OpenCL C
    .language_version:
      - 2
      - 0
    .max_flat_workgroup_size: 512
    .name:           _Z25blocked_to_striped_kernelIxxLj1024ELj4EEvPT_PT0_
    .private_segment_fixed_size: 0
    .sgpr_count:     7
    .sgpr_spill_count: 0
    .symbol:         _Z25blocked_to_striped_kernelIxxLj1024ELj4EEvPT_PT0_.kd
    .uniform_work_group_size: 1
    .uses_dynamic_stack: false
    .vgpr_count:     16
    .vgpr_spill_count: 0
    .wavefront_size: 32
  - .args:
      - .address_space:  global
        .offset:         0
        .size:           8
        .value_kind:     global_buffer
      - .address_space:  global
        .offset:         8
        .size:           8
        .value_kind:     global_buffer
    .group_segment_fixed_size: 528
    .kernarg_segment_align: 8
    .kernarg_segment_size: 16
    .language:       OpenCL C
    .language_version:
      - 2
      - 0
    .max_flat_workgroup_size: 512
    .name:           _Z25blocked_to_striped_kernelIiiLj128ELj2EEvPT_PT0_
    .private_segment_fixed_size: 0
    .sgpr_count:     7
    .sgpr_spill_count: 0
    .symbol:         _Z25blocked_to_striped_kernelIiiLj128ELj2EEvPT_PT0_.kd
    .uniform_work_group_size: 1
    .uses_dynamic_stack: false
    .vgpr_count:     7
    .vgpr_spill_count: 0
    .wavefront_size: 32
  - .args:
      - .address_space:  global
        .offset:         0
        .size:           8
        .value_kind:     global_buffer
      - .address_space:  global
        .offset:         8
        .size:           8
        .value_kind:     global_buffer
    .group_segment_fixed_size: 4096
    .kernarg_segment_align: 8
    .kernarg_segment_size: 16
    .language:       OpenCL C
    .language_version:
      - 2
      - 0
    .max_flat_workgroup_size: 512
    .name:           _Z25blocked_to_striped_kernelIxxLj512ELj1EEvPT_PT0_
    .private_segment_fixed_size: 0
    .sgpr_count:     7
    .sgpr_spill_count: 0
    .symbol:         _Z25blocked_to_striped_kernelIxxLj512ELj1EEvPT_PT0_.kd
    .uniform_work_group_size: 1
    .uses_dynamic_stack: false
    .vgpr_count:     4
    .vgpr_spill_count: 0
    .wavefront_size: 32
  - .args:
      - .address_space:  global
        .offset:         0
        .size:           8
        .value_kind:     global_buffer
      - .address_space:  global
        .offset:         8
        .size:           8
        .value_kind:     global_buffer
    .group_segment_fixed_size: 512
    .kernarg_segment_align: 8
    .kernarg_segment_size: 16
    .language:       OpenCL C
    .language_version:
      - 2
      - 0
    .max_flat_workgroup_size: 512
    .name:           _Z25blocked_to_striped_kernelIs5dummyIiELj256ELj1EEvPT_PT0_
    .private_segment_fixed_size: 0
    .sgpr_count:     8
    .sgpr_spill_count: 0
    .symbol:         _Z25blocked_to_striped_kernelIs5dummyIiELj256ELj1EEvPT_PT0_.kd
    .uniform_work_group_size: 1
    .uses_dynamic_stack: false
    .vgpr_count:     4
    .vgpr_spill_count: 0
    .wavefront_size: 32
  - .args:
      - .address_space:  global
        .offset:         0
        .size:           8
        .value_kind:     global_buffer
      - .address_space:  global
        .offset:         8
        .size:           8
        .value_kind:     global_buffer
    .group_segment_fixed_size: 1024
    .kernarg_segment_align: 8
    .kernarg_segment_size: 16
    .language:       OpenCL C
    .language_version:
      - 2
      - 0
    .max_flat_workgroup_size: 512
    .name:           _Z25blocked_to_striped_kernelIyyLj128ELj1EEvPT_PT0_
    .private_segment_fixed_size: 0
    .sgpr_count:     7
    .sgpr_spill_count: 0
    .symbol:         _Z25blocked_to_striped_kernelIyyLj128ELj1EEvPT_PT0_.kd
    .uniform_work_group_size: 1
    .uses_dynamic_stack: false
    .vgpr_count:     4
    .vgpr_spill_count: 0
    .wavefront_size: 32
  - .args:
      - .address_space:  global
        .offset:         0
        .size:           8
        .value_kind:     global_buffer
      - .address_space:  global
        .offset:         8
        .size:           8
        .value_kind:     global_buffer
    .group_segment_fixed_size: 256
    .kernarg_segment_align: 8
    .kernarg_segment_size: 16
    .language:       OpenCL C
    .language_version:
      - 2
      - 0
    .max_flat_workgroup_size: 512
    .name:           _Z25blocked_to_striped_kernelIixLj64ELj1EEvPT_PT0_
    .private_segment_fixed_size: 0
    .sgpr_count:     8
    .sgpr_spill_count: 0
    .symbol:         _Z25blocked_to_striped_kernelIixLj64ELj1EEvPT_PT0_.kd
    .uniform_work_group_size: 1
    .uses_dynamic_stack: false
    .vgpr_count:     4
    .vgpr_spill_count: 0
    .wavefront_size: 32
  - .args:
      - .address_space:  global
        .offset:         0
        .size:           8
        .value_kind:     global_buffer
      - .address_space:  global
        .offset:         8
        .size:           8
        .value_kind:     global_buffer
    .group_segment_fixed_size: 1056
    .kernarg_segment_align: 8
    .kernarg_segment_size: 16
    .language:       OpenCL C
    .language_version:
      - 2
      - 0
    .max_flat_workgroup_size: 512
    .name:           _Z25blocked_to_striped_kernelI6__halfS0_Lj512ELj4EEvPT_PT0_
    .private_segment_fixed_size: 0
    .sgpr_count:     7
    .sgpr_spill_count: 0
    .symbol:         _Z25blocked_to_striped_kernelI6__halfS0_Lj512ELj4EEvPT_PT0_.kd
    .uniform_work_group_size: 1
    .uses_dynamic_stack: false
    .vgpr_count:     9
    .vgpr_spill_count: 0
    .wavefront_size: 32
  - .args:
      - .address_space:  global
        .offset:         0
        .size:           8
        .value_kind:     global_buffer
      - .address_space:  global
        .offset:         8
        .size:           8
        .value_kind:     global_buffer
    .group_segment_fixed_size: 1056
    .kernarg_segment_align: 8
    .kernarg_segment_size: 16
    .language:       OpenCL C
    .language_version:
      - 2
      - 0
    .max_flat_workgroup_size: 512
    .name:           _Z25blocked_to_striped_kernelI12hip_bfloat16S0_Lj512ELj4EEvPT_PT0_
    .private_segment_fixed_size: 0
    .sgpr_count:     7
    .sgpr_spill_count: 0
    .symbol:         _Z25blocked_to_striped_kernelI12hip_bfloat16S0_Lj512ELj4EEvPT_PT0_.kd
    .uniform_work_group_size: 1
    .uses_dynamic_stack: false
    .vgpr_count:     9
    .vgpr_spill_count: 0
    .wavefront_size: 32
  - .args:
      - .address_space:  global
        .offset:         0
        .size:           8
        .value_kind:     global_buffer
      - .address_space:  global
        .offset:         8
        .size:           8
        .value_kind:     global_buffer
    .group_segment_fixed_size: 2112
    .kernarg_segment_align: 8
    .kernarg_segment_size: 16
    .language:       OpenCL C
    .language_version:
      - 2
      - 0
    .max_flat_workgroup_size: 512
    .name:           _Z25blocked_to_striped_kernelIfdLj512ELj4EEvPT_PT0_
    .private_segment_fixed_size: 0
    .sgpr_count:     8
    .sgpr_spill_count: 0
    .symbol:         _Z25blocked_to_striped_kernelIfdLj512ELj4EEvPT_PT0_.kd
    .uniform_work_group_size: 1
    .uses_dynamic_stack: false
    .vgpr_count:     12
    .vgpr_spill_count: 0
    .wavefront_size: 32
  - .args:
      - .address_space:  global
        .offset:         0
        .size:           8
        .value_kind:     global_buffer
      - .address_space:  global
        .offset:         8
        .size:           8
        .value_kind:     global_buffer
    .group_segment_fixed_size: 2112
    .kernarg_segment_align: 8
    .kernarg_segment_size: 16
    .language:       OpenCL C
    .language_version:
      - 2
      - 0
    .max_flat_workgroup_size: 512
    .name:           _Z25blocked_to_striped_kernelIiiLj512ELj4EEvPT_PT0_
    .private_segment_fixed_size: 0
    .sgpr_count:     7
    .sgpr_spill_count: 0
    .symbol:         _Z25blocked_to_striped_kernelIiiLj512ELj4EEvPT_PT0_.kd
    .uniform_work_group_size: 1
    .uses_dynamic_stack: false
    .vgpr_count:     12
    .vgpr_spill_count: 0
    .wavefront_size: 32
  - .args:
      - .address_space:  global
        .offset:         0
        .size:           8
        .value_kind:     global_buffer
      - .address_space:  global
        .offset:         8
        .size:           8
        .value_kind:     global_buffer
    .group_segment_fixed_size: 4224
    .kernarg_segment_align: 8
    .kernarg_segment_size: 16
    .language:       OpenCL C
    .language_version:
      - 2
      - 0
    .max_flat_workgroup_size: 512
    .name:           _Z25striped_to_blocked_kernelIsiLj2106ELj9EEvPT_PT0_
    .private_segment_fixed_size: 0
    .sgpr_count:     8
    .sgpr_spill_count: 0
    .symbol:         _Z25striped_to_blocked_kernelIsiLj2106ELj9EEvPT_PT0_.kd
    .uniform_work_group_size: 1
    .uses_dynamic_stack: false
    .vgpr_count:     15
    .vgpr_spill_count: 0
    .wavefront_size: 32
  - .args:
      - .address_space:  global
        .offset:         0
        .size:           8
        .value_kind:     global_buffer
      - .address_space:  global
        .offset:         8
        .size:           8
        .value_kind:     global_buffer
    .group_segment_fixed_size: 608
    .kernarg_segment_align: 8
    .kernarg_segment_size: 16
    .language:       OpenCL C
    .language_version:
      - 2
      - 0
    .max_flat_workgroup_size: 512
    .name:           _Z25striped_to_blocked_kernelItjLj300ELj3EEvPT_PT0_
    .private_segment_fixed_size: 0
    .sgpr_count:     8
    .sgpr_spill_count: 0
    .symbol:         _Z25striped_to_blocked_kernelItjLj300ELj3EEvPT_PT0_.kd
    .uniform_work_group_size: 1
    .uses_dynamic_stack: false
    .vgpr_count:     5
    .vgpr_spill_count: 0
    .wavefront_size: 32
  - .args:
      - .address_space:  global
        .offset:         0
        .size:           8
        .value_kind:     global_buffer
      - .address_space:  global
        .offset:         8
        .size:           8
        .value_kind:     global_buffer
    .group_segment_fixed_size: 960
    .kernarg_segment_align: 8
    .kernarg_segment_size: 16
    .language:       OpenCL C
    .language_version:
      - 2
      - 0
    .max_flat_workgroup_size: 512
    .name:           _Z25striped_to_blocked_kernelIc5dummyIdELj928ELj2EEvPT_PT0_
    .private_segment_fixed_size: 0
    .sgpr_count:     7
    .sgpr_spill_count: 0
    .symbol:         _Z25striped_to_blocked_kernelIc5dummyIdELj928ELj2EEvPT_PT0_.kd
    .uniform_work_group_size: 1
    .uses_dynamic_stack: false
    .vgpr_count:     10
    .vgpr_spill_count: 0
    .wavefront_size: 32
  - .args:
      - .address_space:  global
        .offset:         0
        .size:           8
        .value_kind:     global_buffer
      - .address_space:  global
        .offset:         8
        .size:           8
        .value_kind:     global_buffer
    .group_segment_fixed_size: 672
    .kernarg_segment_align: 8
    .kernarg_segment_size: 16
    .language:       OpenCL C
    .language_version:
      - 2
      - 0
    .max_flat_workgroup_size: 512
    .name:           _Z25striped_to_blocked_kernelIfiLj165ELj5EEvPT_PT0_
    .private_segment_fixed_size: 0
    .sgpr_count:     7
    .sgpr_spill_count: 0
    .symbol:         _Z25striped_to_blocked_kernelIfiLj165ELj5EEvPT_PT0_.kd
    .uniform_work_group_size: 1
    .uses_dynamic_stack: false
    .vgpr_count:     10
    .vgpr_spill_count: 0
    .wavefront_size: 32
  - .args:
      - .address_space:  global
        .offset:         0
        .size:           8
        .value_kind:     global_buffer
      - .address_space:  global
        .offset:         8
        .size:           8
        .value_kind:     global_buffer
    .group_segment_fixed_size: 672
    .kernarg_segment_align: 8
    .kernarg_segment_size: 16
    .language:       OpenCL C
    .language_version:
      - 2
      - 0
    .max_flat_workgroup_size: 512
    .name:           _Z25striped_to_blocked_kernelIidLj165ELj5EEvPT_PT0_
    .private_segment_fixed_size: 0
    .sgpr_count:     8
    .sgpr_spill_count: 0
    .symbol:         _Z25striped_to_blocked_kernelIidLj165ELj5EEvPT_PT0_.kd
    .uniform_work_group_size: 1
    .uses_dynamic_stack: false
    .vgpr_count:     12
    .vgpr_spill_count: 0
    .wavefront_size: 32
  - .args:
      - .address_space:  global
        .offset:         0
        .size:           8
        .value_kind:     global_buffer
      - .address_space:  global
        .offset:         8
        .size:           8
        .value_kind:     global_buffer
    .group_segment_fixed_size: 1536
    .kernarg_segment_align: 8
    .kernarg_segment_size: 16
    .language:       OpenCL C
    .language_version:
      - 2
      - 0
    .max_flat_workgroup_size: 512
    .name:           _Z25striped_to_blocked_kernelIyyLj192ELj3EEvPT_PT0_
    .private_segment_fixed_size: 0
    .sgpr_count:     7
    .sgpr_spill_count: 0
    .symbol:         _Z25striped_to_blocked_kernelIyyLj192ELj3EEvPT_PT0_.kd
    .uniform_work_group_size: 1
    .uses_dynamic_stack: false
    .vgpr_count:     11
    .vgpr_spill_count: 0
    .wavefront_size: 32
  - .args:
      - .address_space:  global
        .offset:         0
        .size:           8
        .value_kind:     global_buffer
      - .address_space:  global
        .offset:         8
        .size:           8
        .value_kind:     global_buffer
    .group_segment_fixed_size: 1536
    .kernarg_segment_align: 8
    .kernarg_segment_size: 16
    .language:       OpenCL C
    .language_version:
      - 2
      - 0
    .max_flat_workgroup_size: 512
    .name:           _Z25striped_to_blocked_kernelIiiLj384ELj3EEvPT_PT0_
    .private_segment_fixed_size: 0
    .sgpr_count:     7
    .sgpr_spill_count: 0
    .symbol:         _Z25striped_to_blocked_kernelIiiLj384ELj3EEvPT_PT0_.kd
    .uniform_work_group_size: 1
    .uses_dynamic_stack: false
    .vgpr_count:     6
    .vgpr_spill_count: 0
    .wavefront_size: 32
  - .args:
      - .address_space:  global
        .offset:         0
        .size:           8
        .value_kind:     global_buffer
      - .address_space:  global
        .offset:         8
        .size:           8
        .value_kind:     global_buffer
    .group_segment_fixed_size: 1792
    .kernarg_segment_align: 8
    .kernarg_segment_size: 16
    .language:       OpenCL C
    .language_version:
      - 2
      - 0
    .max_flat_workgroup_size: 512
    .name:           _Z25striped_to_blocked_kernelIs5dummyIfELj896ELj7EEvPT_PT0_
    .private_segment_fixed_size: 0
    .sgpr_count:     8
    .sgpr_spill_count: 0
    .symbol:         _Z25striped_to_blocked_kernelIs5dummyIfELj896ELj7EEvPT_PT0_.kd
    .uniform_work_group_size: 1
    .uses_dynamic_stack: false
    .vgpr_count:     21
    .vgpr_spill_count: 0
    .wavefront_size: 32
  - .args:
      - .address_space:  global
        .offset:         0
        .size:           8
        .value_kind:     global_buffer
      - .address_space:  global
        .offset:         8
        .size:           8
        .value_kind:     global_buffer
    .group_segment_fixed_size: 10240
    .kernarg_segment_align: 8
    .kernarg_segment_size: 16
    .language:       OpenCL C
    .language_version:
      - 2
      - 0
    .max_flat_workgroup_size: 512
    .name:           _Z25striped_to_blocked_kernelIiiLj2560ELj5EEvPT_PT0_
    .private_segment_fixed_size: 0
    .sgpr_count:     7
    .sgpr_spill_count: 0
    .symbol:         _Z25striped_to_blocked_kernelIiiLj2560ELj5EEvPT_PT0_.kd
    .uniform_work_group_size: 1
    .uses_dynamic_stack: false
    .vgpr_count:     10
    .vgpr_spill_count: 0
    .wavefront_size: 32
  - .args:
      - .address_space:  global
        .offset:         0
        .size:           8
        .value_kind:     global_buffer
      - .address_space:  global
        .offset:         8
        .size:           8
        .value_kind:     global_buffer
    .group_segment_fixed_size: 8448
    .kernarg_segment_align: 8
    .kernarg_segment_size: 16
    .language:       OpenCL C
    .language_version:
      - 2
      - 0
    .max_flat_workgroup_size: 512
    .name:           _Z25striped_to_blocked_kernelIxxLj1024ELj4EEvPT_PT0_
    .private_segment_fixed_size: 0
    .sgpr_count:     7
    .sgpr_spill_count: 0
    .symbol:         _Z25striped_to_blocked_kernelIxxLj1024ELj4EEvPT_PT0_.kd
    .uniform_work_group_size: 1
    .uses_dynamic_stack: false
    .vgpr_count:     15
    .vgpr_spill_count: 0
    .wavefront_size: 32
  - .args:
      - .address_space:  global
        .offset:         0
        .size:           8
        .value_kind:     global_buffer
      - .address_space:  global
        .offset:         8
        .size:           8
        .value_kind:     global_buffer
    .group_segment_fixed_size: 528
    .kernarg_segment_align: 8
    .kernarg_segment_size: 16
    .language:       OpenCL C
    .language_version:
      - 2
      - 0
    .max_flat_workgroup_size: 512
    .name:           _Z25striped_to_blocked_kernelIiiLj128ELj2EEvPT_PT0_
    .private_segment_fixed_size: 0
    .sgpr_count:     7
    .sgpr_spill_count: 0
    .symbol:         _Z25striped_to_blocked_kernelIiiLj128ELj2EEvPT_PT0_.kd
    .uniform_work_group_size: 1
    .uses_dynamic_stack: false
    .vgpr_count:     7
    .vgpr_spill_count: 0
    .wavefront_size: 32
  - .args:
      - .address_space:  global
        .offset:         0
        .size:           8
        .value_kind:     global_buffer
      - .address_space:  global
        .offset:         8
        .size:           8
        .value_kind:     global_buffer
    .group_segment_fixed_size: 4096
    .kernarg_segment_align: 8
    .kernarg_segment_size: 16
    .language:       OpenCL C
    .language_version:
      - 2
      - 0
    .max_flat_workgroup_size: 512
    .name:           _Z25striped_to_blocked_kernelIxxLj512ELj1EEvPT_PT0_
    .private_segment_fixed_size: 0
    .sgpr_count:     7
    .sgpr_spill_count: 0
    .symbol:         _Z25striped_to_blocked_kernelIxxLj512ELj1EEvPT_PT0_.kd
    .uniform_work_group_size: 1
    .uses_dynamic_stack: false
    .vgpr_count:     4
    .vgpr_spill_count: 0
    .wavefront_size: 32
  - .args:
      - .address_space:  global
        .offset:         0
        .size:           8
        .value_kind:     global_buffer
      - .address_space:  global
        .offset:         8
        .size:           8
        .value_kind:     global_buffer
    .group_segment_fixed_size: 512
    .kernarg_segment_align: 8
    .kernarg_segment_size: 16
    .language:       OpenCL C
    .language_version:
      - 2
      - 0
    .max_flat_workgroup_size: 512
    .name:           _Z25striped_to_blocked_kernelIs5dummyIiELj256ELj1EEvPT_PT0_
    .private_segment_fixed_size: 0
    .sgpr_count:     8
    .sgpr_spill_count: 0
    .symbol:         _Z25striped_to_blocked_kernelIs5dummyIiELj256ELj1EEvPT_PT0_.kd
    .uniform_work_group_size: 1
    .uses_dynamic_stack: false
    .vgpr_count:     4
    .vgpr_spill_count: 0
    .wavefront_size: 32
  - .args:
      - .address_space:  global
        .offset:         0
        .size:           8
        .value_kind:     global_buffer
      - .address_space:  global
        .offset:         8
        .size:           8
        .value_kind:     global_buffer
    .group_segment_fixed_size: 1024
    .kernarg_segment_align: 8
    .kernarg_segment_size: 16
    .language:       OpenCL C
    .language_version:
      - 2
      - 0
    .max_flat_workgroup_size: 512
    .name:           _Z25striped_to_blocked_kernelIyyLj128ELj1EEvPT_PT0_
    .private_segment_fixed_size: 0
    .sgpr_count:     7
    .sgpr_spill_count: 0
    .symbol:         _Z25striped_to_blocked_kernelIyyLj128ELj1EEvPT_PT0_.kd
    .uniform_work_group_size: 1
    .uses_dynamic_stack: false
    .vgpr_count:     4
    .vgpr_spill_count: 0
    .wavefront_size: 32
  - .args:
      - .address_space:  global
        .offset:         0
        .size:           8
        .value_kind:     global_buffer
      - .address_space:  global
        .offset:         8
        .size:           8
        .value_kind:     global_buffer
    .group_segment_fixed_size: 256
    .kernarg_segment_align: 8
    .kernarg_segment_size: 16
    .language:       OpenCL C
    .language_version:
      - 2
      - 0
    .max_flat_workgroup_size: 512
    .name:           _Z25striped_to_blocked_kernelIixLj64ELj1EEvPT_PT0_
    .private_segment_fixed_size: 0
    .sgpr_count:     8
    .sgpr_spill_count: 0
    .symbol:         _Z25striped_to_blocked_kernelIixLj64ELj1EEvPT_PT0_.kd
    .uniform_work_group_size: 1
    .uses_dynamic_stack: false
    .vgpr_count:     4
    .vgpr_spill_count: 0
    .wavefront_size: 32
  - .args:
      - .address_space:  global
        .offset:         0
        .size:           8
        .value_kind:     global_buffer
      - .address_space:  global
        .offset:         8
        .size:           8
        .value_kind:     global_buffer
    .group_segment_fixed_size: 1056
    .kernarg_segment_align: 8
    .kernarg_segment_size: 16
    .language:       OpenCL C
    .language_version:
      - 2
      - 0
    .max_flat_workgroup_size: 512
    .name:           _Z25striped_to_blocked_kernelI6__halfS0_Lj512ELj4EEvPT_PT0_
    .private_segment_fixed_size: 0
    .sgpr_count:     7
    .sgpr_spill_count: 0
    .symbol:         _Z25striped_to_blocked_kernelI6__halfS0_Lj512ELj4EEvPT_PT0_.kd
    .uniform_work_group_size: 1
    .uses_dynamic_stack: false
    .vgpr_count:     9
    .vgpr_spill_count: 0
    .wavefront_size: 32
  - .args:
      - .address_space:  global
        .offset:         0
        .size:           8
        .value_kind:     global_buffer
      - .address_space:  global
        .offset:         8
        .size:           8
        .value_kind:     global_buffer
    .group_segment_fixed_size: 1056
    .kernarg_segment_align: 8
    .kernarg_segment_size: 16
    .language:       OpenCL C
    .language_version:
      - 2
      - 0
    .max_flat_workgroup_size: 512
    .name:           _Z25striped_to_blocked_kernelI12hip_bfloat16S0_Lj512ELj4EEvPT_PT0_
    .private_segment_fixed_size: 0
    .sgpr_count:     7
    .sgpr_spill_count: 0
    .symbol:         _Z25striped_to_blocked_kernelI12hip_bfloat16S0_Lj512ELj4EEvPT_PT0_.kd
    .uniform_work_group_size: 1
    .uses_dynamic_stack: false
    .vgpr_count:     9
    .vgpr_spill_count: 0
    .wavefront_size: 32
  - .args:
      - .address_space:  global
        .offset:         0
        .size:           8
        .value_kind:     global_buffer
      - .address_space:  global
        .offset:         8
        .size:           8
        .value_kind:     global_buffer
    .group_segment_fixed_size: 2112
    .kernarg_segment_align: 8
    .kernarg_segment_size: 16
    .language:       OpenCL C
    .language_version:
      - 2
      - 0
    .max_flat_workgroup_size: 512
    .name:           _Z25striped_to_blocked_kernelIfdLj512ELj4EEvPT_PT0_
    .private_segment_fixed_size: 0
    .sgpr_count:     8
    .sgpr_spill_count: 0
    .symbol:         _Z25striped_to_blocked_kernelIfdLj512ELj4EEvPT_PT0_.kd
    .uniform_work_group_size: 1
    .uses_dynamic_stack: false
    .vgpr_count:     11
    .vgpr_spill_count: 0
    .wavefront_size: 32
  - .args:
      - .address_space:  global
        .offset:         0
        .size:           8
        .value_kind:     global_buffer
      - .address_space:  global
        .offset:         8
        .size:           8
        .value_kind:     global_buffer
    .group_segment_fixed_size: 2112
    .kernarg_segment_align: 8
    .kernarg_segment_size: 16
    .language:       OpenCL C
    .language_version:
      - 2
      - 0
    .max_flat_workgroup_size: 512
    .name:           _Z25striped_to_blocked_kernelIiiLj512ELj4EEvPT_PT0_
    .private_segment_fixed_size: 0
    .sgpr_count:     7
    .sgpr_spill_count: 0
    .symbol:         _Z25striped_to_blocked_kernelIiiLj512ELj4EEvPT_PT0_.kd
    .uniform_work_group_size: 1
    .uses_dynamic_stack: false
    .vgpr_count:     11
    .vgpr_spill_count: 0
    .wavefront_size: 32
  - .args:
      - .address_space:  global
        .offset:         0
        .size:           8
        .value_kind:     global_buffer
      - .address_space:  global
        .offset:         8
        .size:           8
        .value_kind:     global_buffer
    .group_segment_fixed_size: 4224
    .kernarg_segment_align: 8
    .kernarg_segment_size: 16
    .language:       OpenCL C
    .language_version:
      - 2
      - 0
    .max_flat_workgroup_size: 512
    .name:           _Z30blocked_to_warp_striped_kernelIsiLj2106ELj9EEvPT_PT0_
    .private_segment_fixed_size: 0
    .sgpr_count:     10
    .sgpr_spill_count: 0
    .symbol:         _Z30blocked_to_warp_striped_kernelIsiLj2106ELj9EEvPT_PT0_.kd
    .uniform_work_group_size: 1
    .uses_dynamic_stack: false
    .vgpr_count:     17
    .vgpr_spill_count: 0
    .wavefront_size: 32
  - .args:
      - .address_space:  global
        .offset:         0
        .size:           8
        .value_kind:     global_buffer
      - .address_space:  global
        .offset:         8
        .size:           8
        .value_kind:     global_buffer
    .group_segment_fixed_size: 608
    .kernarg_segment_align: 8
    .kernarg_segment_size: 16
    .language:       OpenCL C
    .language_version:
      - 2
      - 0
    .max_flat_workgroup_size: 512
    .name:           _Z30blocked_to_warp_striped_kernelItjLj300ELj3EEvPT_PT0_
    .private_segment_fixed_size: 0
    .sgpr_count:     10
    .sgpr_spill_count: 0
    .symbol:         _Z30blocked_to_warp_striped_kernelItjLj300ELj3EEvPT_PT0_.kd
    .uniform_work_group_size: 1
    .uses_dynamic_stack: false
    .vgpr_count:     8
    .vgpr_spill_count: 0
    .wavefront_size: 32
  - .args:
      - .address_space:  global
        .offset:         0
        .size:           8
        .value_kind:     global_buffer
      - .address_space:  global
        .offset:         8
        .size:           8
        .value_kind:     global_buffer
    .group_segment_fixed_size: 960
    .kernarg_segment_align: 8
    .kernarg_segment_size: 16
    .language:       OpenCL C
    .language_version:
      - 2
      - 0
    .max_flat_workgroup_size: 512
    .name:           _Z30blocked_to_warp_striped_kernelIc5dummyIdELj928ELj2EEvPT_PT0_
    .private_segment_fixed_size: 0
    .sgpr_count:     9
    .sgpr_spill_count: 0
    .symbol:         _Z30blocked_to_warp_striped_kernelIc5dummyIdELj928ELj2EEvPT_PT0_.kd
    .uniform_work_group_size: 1
    .uses_dynamic_stack: false
    .vgpr_count:     10
    .vgpr_spill_count: 0
    .wavefront_size: 32
  - .args:
      - .address_space:  global
        .offset:         0
        .size:           8
        .value_kind:     global_buffer
      - .address_space:  global
        .offset:         8
        .size:           8
        .value_kind:     global_buffer
    .group_segment_fixed_size: 672
    .kernarg_segment_align: 8
    .kernarg_segment_size: 16
    .language:       OpenCL C
    .language_version:
      - 2
      - 0
    .max_flat_workgroup_size: 512
    .name:           _Z30blocked_to_warp_striped_kernelIfiLj165ELj5EEvPT_PT0_
    .private_segment_fixed_size: 0
    .sgpr_count:     9
    .sgpr_spill_count: 0
    .symbol:         _Z30blocked_to_warp_striped_kernelIfiLj165ELj5EEvPT_PT0_.kd
    .uniform_work_group_size: 1
    .uses_dynamic_stack: false
    .vgpr_count:     13
    .vgpr_spill_count: 0
    .wavefront_size: 32
  - .args:
      - .address_space:  global
        .offset:         0
        .size:           8
        .value_kind:     global_buffer
      - .address_space:  global
        .offset:         8
        .size:           8
        .value_kind:     global_buffer
    .group_segment_fixed_size: 672
    .kernarg_segment_align: 8
    .kernarg_segment_size: 16
    .language:       OpenCL C
    .language_version:
      - 2
      - 0
    .max_flat_workgroup_size: 512
    .name:           _Z30blocked_to_warp_striped_kernelIidLj165ELj5EEvPT_PT0_
    .private_segment_fixed_size: 0
    .sgpr_count:     10
    .sgpr_spill_count: 0
    .symbol:         _Z30blocked_to_warp_striped_kernelIidLj165ELj5EEvPT_PT0_.kd
    .uniform_work_group_size: 1
    .uses_dynamic_stack: false
    .vgpr_count:     12
    .vgpr_spill_count: 0
    .wavefront_size: 32
  - .args:
      - .address_space:  global
        .offset:         0
        .size:           8
        .value_kind:     global_buffer
      - .address_space:  global
        .offset:         8
        .size:           8
        .value_kind:     global_buffer
    .group_segment_fixed_size: 1536
    .kernarg_segment_align: 8
    .kernarg_segment_size: 16
    .language:       OpenCL C
    .language_version:
      - 2
      - 0
    .max_flat_workgroup_size: 512
    .name:           _Z30blocked_to_warp_striped_kernelIyyLj192ELj3EEvPT_PT0_
    .private_segment_fixed_size: 0
    .sgpr_count:     7
    .sgpr_spill_count: 0
    .symbol:         _Z30blocked_to_warp_striped_kernelIyyLj192ELj3EEvPT_PT0_.kd
    .uniform_work_group_size: 1
    .uses_dynamic_stack: false
    .vgpr_count:     11
    .vgpr_spill_count: 0
    .wavefront_size: 32
  - .args:
      - .address_space:  global
        .offset:         0
        .size:           8
        .value_kind:     global_buffer
      - .address_space:  global
        .offset:         8
        .size:           8
        .value_kind:     global_buffer
    .group_segment_fixed_size: 1536
    .kernarg_segment_align: 8
    .kernarg_segment_size: 16
    .language:       OpenCL C
    .language_version:
      - 2
      - 0
    .max_flat_workgroup_size: 512
    .name:           _Z30blocked_to_warp_striped_kernelIiiLj384ELj3EEvPT_PT0_
    .private_segment_fixed_size: 0
    .sgpr_count:     7
    .sgpr_spill_count: 0
    .symbol:         _Z30blocked_to_warp_striped_kernelIiiLj384ELj3EEvPT_PT0_.kd
    .uniform_work_group_size: 1
    .uses_dynamic_stack: false
    .vgpr_count:     7
    .vgpr_spill_count: 0
    .wavefront_size: 32
  - .args:
      - .address_space:  global
        .offset:         0
        .size:           8
        .value_kind:     global_buffer
      - .address_space:  global
        .offset:         8
        .size:           8
        .value_kind:     global_buffer
    .group_segment_fixed_size: 1792
    .kernarg_segment_align: 8
    .kernarg_segment_size: 16
    .language:       OpenCL C
    .language_version:
      - 2
      - 0
    .max_flat_workgroup_size: 512
    .name:           _Z30blocked_to_warp_striped_kernelIs5dummyIfELj896ELj7EEvPT_PT0_
    .private_segment_fixed_size: 0
    .sgpr_count:     8
    .sgpr_spill_count: 0
    .symbol:         _Z30blocked_to_warp_striped_kernelIs5dummyIfELj896ELj7EEvPT_PT0_.kd
    .uniform_work_group_size: 1
    .uses_dynamic_stack: false
    .vgpr_count:     21
    .vgpr_spill_count: 0
    .wavefront_size: 32
  - .args:
      - .address_space:  global
        .offset:         0
        .size:           8
        .value_kind:     global_buffer
      - .address_space:  global
        .offset:         8
        .size:           8
        .value_kind:     global_buffer
    .group_segment_fixed_size: 10240
    .kernarg_segment_align: 8
    .kernarg_segment_size: 16
    .language:       OpenCL C
    .language_version:
      - 2
      - 0
    .max_flat_workgroup_size: 512
    .name:           _Z30blocked_to_warp_striped_kernelIiiLj2560ELj5EEvPT_PT0_
    .private_segment_fixed_size: 0
    .sgpr_count:     7
    .sgpr_spill_count: 0
    .symbol:         _Z30blocked_to_warp_striped_kernelIiiLj2560ELj5EEvPT_PT0_.kd
    .uniform_work_group_size: 1
    .uses_dynamic_stack: false
    .vgpr_count:     10
    .vgpr_spill_count: 0
    .wavefront_size: 32
  - .args:
      - .address_space:  global
        .offset:         0
        .size:           8
        .value_kind:     global_buffer
      - .address_space:  global
        .offset:         8
        .size:           8
        .value_kind:     global_buffer
    .group_segment_fixed_size: 8448
    .kernarg_segment_align: 8
    .kernarg_segment_size: 16
    .language:       OpenCL C
    .language_version:
      - 2
      - 0
    .max_flat_workgroup_size: 512
    .name:           _Z30blocked_to_warp_striped_kernelIxxLj1024ELj4EEvPT_PT0_
    .private_segment_fixed_size: 0
    .sgpr_count:     7
    .sgpr_spill_count: 0
    .symbol:         _Z30blocked_to_warp_striped_kernelIxxLj1024ELj4EEvPT_PT0_.kd
    .uniform_work_group_size: 1
    .uses_dynamic_stack: false
    .vgpr_count:     16
    .vgpr_spill_count: 0
    .wavefront_size: 32
  - .args:
      - .address_space:  global
        .offset:         0
        .size:           8
        .value_kind:     global_buffer
      - .address_space:  global
        .offset:         8
        .size:           8
        .value_kind:     global_buffer
    .group_segment_fixed_size: 528
    .kernarg_segment_align: 8
    .kernarg_segment_size: 16
    .language:       OpenCL C
    .language_version:
      - 2
      - 0
    .max_flat_workgroup_size: 512
    .name:           _Z30blocked_to_warp_striped_kernelIiiLj128ELj2EEvPT_PT0_
    .private_segment_fixed_size: 0
    .sgpr_count:     7
    .sgpr_spill_count: 0
    .symbol:         _Z30blocked_to_warp_striped_kernelIiiLj128ELj2EEvPT_PT0_.kd
    .uniform_work_group_size: 1
    .uses_dynamic_stack: false
    .vgpr_count:     8
    .vgpr_spill_count: 0
    .wavefront_size: 32
  - .args:
      - .address_space:  global
        .offset:         0
        .size:           8
        .value_kind:     global_buffer
      - .address_space:  global
        .offset:         8
        .size:           8
        .value_kind:     global_buffer
    .group_segment_fixed_size: 4096
    .kernarg_segment_align: 8
    .kernarg_segment_size: 16
    .language:       OpenCL C
    .language_version:
      - 2
      - 0
    .max_flat_workgroup_size: 512
    .name:           _Z30blocked_to_warp_striped_kernelIxxLj512ELj1EEvPT_PT0_
    .private_segment_fixed_size: 0
    .sgpr_count:     7
    .sgpr_spill_count: 0
    .symbol:         _Z30blocked_to_warp_striped_kernelIxxLj512ELj1EEvPT_PT0_.kd
    .uniform_work_group_size: 1
    .uses_dynamic_stack: false
    .vgpr_count:     4
    .vgpr_spill_count: 0
    .wavefront_size: 32
  - .args:
      - .address_space:  global
        .offset:         0
        .size:           8
        .value_kind:     global_buffer
      - .address_space:  global
        .offset:         8
        .size:           8
        .value_kind:     global_buffer
    .group_segment_fixed_size: 512
    .kernarg_segment_align: 8
    .kernarg_segment_size: 16
    .language:       OpenCL C
    .language_version:
      - 2
      - 0
    .max_flat_workgroup_size: 512
    .name:           _Z30blocked_to_warp_striped_kernelIs5dummyIiELj256ELj1EEvPT_PT0_
    .private_segment_fixed_size: 0
    .sgpr_count:     8
    .sgpr_spill_count: 0
    .symbol:         _Z30blocked_to_warp_striped_kernelIs5dummyIiELj256ELj1EEvPT_PT0_.kd
    .uniform_work_group_size: 1
    .uses_dynamic_stack: false
    .vgpr_count:     4
    .vgpr_spill_count: 0
    .wavefront_size: 32
  - .args:
      - .address_space:  global
        .offset:         0
        .size:           8
        .value_kind:     global_buffer
      - .address_space:  global
        .offset:         8
        .size:           8
        .value_kind:     global_buffer
    .group_segment_fixed_size: 1024
    .kernarg_segment_align: 8
    .kernarg_segment_size: 16
    .language:       OpenCL C
    .language_version:
      - 2
      - 0
    .max_flat_workgroup_size: 512
    .name:           _Z30blocked_to_warp_striped_kernelIyyLj128ELj1EEvPT_PT0_
    .private_segment_fixed_size: 0
    .sgpr_count:     7
    .sgpr_spill_count: 0
    .symbol:         _Z30blocked_to_warp_striped_kernelIyyLj128ELj1EEvPT_PT0_.kd
    .uniform_work_group_size: 1
    .uses_dynamic_stack: false
    .vgpr_count:     4
    .vgpr_spill_count: 0
    .wavefront_size: 32
  - .args:
      - .address_space:  global
        .offset:         0
        .size:           8
        .value_kind:     global_buffer
      - .address_space:  global
        .offset:         8
        .size:           8
        .value_kind:     global_buffer
    .group_segment_fixed_size: 256
    .kernarg_segment_align: 8
    .kernarg_segment_size: 16
    .language:       OpenCL C
    .language_version:
      - 2
      - 0
    .max_flat_workgroup_size: 512
    .name:           _Z30blocked_to_warp_striped_kernelIixLj64ELj1EEvPT_PT0_
    .private_segment_fixed_size: 0
    .sgpr_count:     8
    .sgpr_spill_count: 0
    .symbol:         _Z30blocked_to_warp_striped_kernelIixLj64ELj1EEvPT_PT0_.kd
    .uniform_work_group_size: 1
    .uses_dynamic_stack: false
    .vgpr_count:     4
    .vgpr_spill_count: 0
    .wavefront_size: 32
  - .args:
      - .address_space:  global
        .offset:         0
        .size:           8
        .value_kind:     global_buffer
      - .address_space:  global
        .offset:         8
        .size:           8
        .value_kind:     global_buffer
    .group_segment_fixed_size: 1056
    .kernarg_segment_align: 8
    .kernarg_segment_size: 16
    .language:       OpenCL C
    .language_version:
      - 2
      - 0
    .max_flat_workgroup_size: 512
    .name:           _Z30blocked_to_warp_striped_kernelI6__halfS0_Lj512ELj4EEvPT_PT0_
    .private_segment_fixed_size: 0
    .sgpr_count:     7
    .sgpr_spill_count: 0
    .symbol:         _Z30blocked_to_warp_striped_kernelI6__halfS0_Lj512ELj4EEvPT_PT0_.kd
    .uniform_work_group_size: 1
    .uses_dynamic_stack: false
    .vgpr_count:     10
    .vgpr_spill_count: 0
    .wavefront_size: 32
  - .args:
      - .address_space:  global
        .offset:         0
        .size:           8
        .value_kind:     global_buffer
      - .address_space:  global
        .offset:         8
        .size:           8
        .value_kind:     global_buffer
    .group_segment_fixed_size: 1056
    .kernarg_segment_align: 8
    .kernarg_segment_size: 16
    .language:       OpenCL C
    .language_version:
      - 2
      - 0
    .max_flat_workgroup_size: 512
    .name:           _Z30blocked_to_warp_striped_kernelI12hip_bfloat16S0_Lj512ELj4EEvPT_PT0_
    .private_segment_fixed_size: 0
    .sgpr_count:     7
    .sgpr_spill_count: 0
    .symbol:         _Z30blocked_to_warp_striped_kernelI12hip_bfloat16S0_Lj512ELj4EEvPT_PT0_.kd
    .uniform_work_group_size: 1
    .uses_dynamic_stack: false
    .vgpr_count:     10
    .vgpr_spill_count: 0
    .wavefront_size: 32
  - .args:
      - .address_space:  global
        .offset:         0
        .size:           8
        .value_kind:     global_buffer
      - .address_space:  global
        .offset:         8
        .size:           8
        .value_kind:     global_buffer
    .group_segment_fixed_size: 2112
    .kernarg_segment_align: 8
    .kernarg_segment_size: 16
    .language:       OpenCL C
    .language_version:
      - 2
      - 0
    .max_flat_workgroup_size: 512
    .name:           _Z30blocked_to_warp_striped_kernelIfdLj512ELj4EEvPT_PT0_
    .private_segment_fixed_size: 0
    .sgpr_count:     8
    .sgpr_spill_count: 0
    .symbol:         _Z30blocked_to_warp_striped_kernelIfdLj512ELj4EEvPT_PT0_.kd
    .uniform_work_group_size: 1
    .uses_dynamic_stack: false
    .vgpr_count:     12
    .vgpr_spill_count: 0
    .wavefront_size: 32
  - .args:
      - .address_space:  global
        .offset:         0
        .size:           8
        .value_kind:     global_buffer
      - .address_space:  global
        .offset:         8
        .size:           8
        .value_kind:     global_buffer
    .group_segment_fixed_size: 2112
    .kernarg_segment_align: 8
    .kernarg_segment_size: 16
    .language:       OpenCL C
    .language_version:
      - 2
      - 0
    .max_flat_workgroup_size: 512
    .name:           _Z30blocked_to_warp_striped_kernelIiiLj512ELj4EEvPT_PT0_
    .private_segment_fixed_size: 0
    .sgpr_count:     7
    .sgpr_spill_count: 0
    .symbol:         _Z30blocked_to_warp_striped_kernelIiiLj512ELj4EEvPT_PT0_.kd
    .uniform_work_group_size: 1
    .uses_dynamic_stack: false
    .vgpr_count:     12
    .vgpr_spill_count: 0
    .wavefront_size: 32
  - .args:
      - .address_space:  global
        .offset:         0
        .size:           8
        .value_kind:     global_buffer
      - .address_space:  global
        .offset:         8
        .size:           8
        .value_kind:     global_buffer
    .group_segment_fixed_size: 4224
    .kernarg_segment_align: 8
    .kernarg_segment_size: 16
    .language:       OpenCL C
    .language_version:
      - 2
      - 0
    .max_flat_workgroup_size: 512
    .name:           _Z30warp_striped_to_blocked_kernelIsiLj2106ELj9EEvPT_PT0_
    .private_segment_fixed_size: 0
    .sgpr_count:     10
    .sgpr_spill_count: 0
    .symbol:         _Z30warp_striped_to_blocked_kernelIsiLj2106ELj9EEvPT_PT0_.kd
    .uniform_work_group_size: 1
    .uses_dynamic_stack: false
    .vgpr_count:     16
    .vgpr_spill_count: 0
    .wavefront_size: 32
  - .args:
      - .address_space:  global
        .offset:         0
        .size:           8
        .value_kind:     global_buffer
      - .address_space:  global
        .offset:         8
        .size:           8
        .value_kind:     global_buffer
    .group_segment_fixed_size: 608
    .kernarg_segment_align: 8
    .kernarg_segment_size: 16
    .language:       OpenCL C
    .language_version:
      - 2
      - 0
    .max_flat_workgroup_size: 512
    .name:           _Z30warp_striped_to_blocked_kernelItjLj300ELj3EEvPT_PT0_
    .private_segment_fixed_size: 0
    .sgpr_count:     10
    .sgpr_spill_count: 0
    .symbol:         _Z30warp_striped_to_blocked_kernelItjLj300ELj3EEvPT_PT0_.kd
    .uniform_work_group_size: 1
    .uses_dynamic_stack: false
    .vgpr_count:     7
    .vgpr_spill_count: 0
    .wavefront_size: 32
  - .args:
      - .address_space:  global
        .offset:         0
        .size:           8
        .value_kind:     global_buffer
      - .address_space:  global
        .offset:         8
        .size:           8
        .value_kind:     global_buffer
    .group_segment_fixed_size: 960
    .kernarg_segment_align: 8
    .kernarg_segment_size: 16
    .language:       OpenCL C
    .language_version:
      - 2
      - 0
    .max_flat_workgroup_size: 512
    .name:           _Z30warp_striped_to_blocked_kernelIc5dummyIdELj928ELj2EEvPT_PT0_
    .private_segment_fixed_size: 0
    .sgpr_count:     9
    .sgpr_spill_count: 0
    .symbol:         _Z30warp_striped_to_blocked_kernelIc5dummyIdELj928ELj2EEvPT_PT0_.kd
    .uniform_work_group_size: 1
    .uses_dynamic_stack: false
    .vgpr_count:     10
    .vgpr_spill_count: 0
    .wavefront_size: 32
  - .args:
      - .address_space:  global
        .offset:         0
        .size:           8
        .value_kind:     global_buffer
      - .address_space:  global
        .offset:         8
        .size:           8
        .value_kind:     global_buffer
    .group_segment_fixed_size: 672
    .kernarg_segment_align: 8
    .kernarg_segment_size: 16
    .language:       OpenCL C
    .language_version:
      - 2
      - 0
    .max_flat_workgroup_size: 512
    .name:           _Z30warp_striped_to_blocked_kernelIfiLj165ELj5EEvPT_PT0_
    .private_segment_fixed_size: 0
    .sgpr_count:     9
    .sgpr_spill_count: 0
    .symbol:         _Z30warp_striped_to_blocked_kernelIfiLj165ELj5EEvPT_PT0_.kd
    .uniform_work_group_size: 1
    .uses_dynamic_stack: false
    .vgpr_count:     13
    .vgpr_spill_count: 0
    .wavefront_size: 32
  - .args:
      - .address_space:  global
        .offset:         0
        .size:           8
        .value_kind:     global_buffer
      - .address_space:  global
        .offset:         8
        .size:           8
        .value_kind:     global_buffer
    .group_segment_fixed_size: 672
    .kernarg_segment_align: 8
    .kernarg_segment_size: 16
    .language:       OpenCL C
    .language_version:
      - 2
      - 0
    .max_flat_workgroup_size: 512
    .name:           _Z30warp_striped_to_blocked_kernelIidLj165ELj5EEvPT_PT0_
    .private_segment_fixed_size: 0
    .sgpr_count:     10
    .sgpr_spill_count: 0
    .symbol:         _Z30warp_striped_to_blocked_kernelIidLj165ELj5EEvPT_PT0_.kd
    .uniform_work_group_size: 1
    .uses_dynamic_stack: false
    .vgpr_count:     13
    .vgpr_spill_count: 0
    .wavefront_size: 32
  - .args:
      - .address_space:  global
        .offset:         0
        .size:           8
        .value_kind:     global_buffer
      - .address_space:  global
        .offset:         8
        .size:           8
        .value_kind:     global_buffer
    .group_segment_fixed_size: 1536
    .kernarg_segment_align: 8
    .kernarg_segment_size: 16
    .language:       OpenCL C
    .language_version:
      - 2
      - 0
    .max_flat_workgroup_size: 512
    .name:           _Z30warp_striped_to_blocked_kernelIyyLj192ELj3EEvPT_PT0_
    .private_segment_fixed_size: 0
    .sgpr_count:     7
    .sgpr_spill_count: 0
    .symbol:         _Z30warp_striped_to_blocked_kernelIyyLj192ELj3EEvPT_PT0_.kd
    .uniform_work_group_size: 1
    .uses_dynamic_stack: false
    .vgpr_count:     11
    .vgpr_spill_count: 0
    .wavefront_size: 32
  - .args:
      - .address_space:  global
        .offset:         0
        .size:           8
        .value_kind:     global_buffer
      - .address_space:  global
        .offset:         8
        .size:           8
        .value_kind:     global_buffer
    .group_segment_fixed_size: 1536
    .kernarg_segment_align: 8
    .kernarg_segment_size: 16
    .language:       OpenCL C
    .language_version:
      - 2
      - 0
    .max_flat_workgroup_size: 512
    .name:           _Z30warp_striped_to_blocked_kernelIiiLj384ELj3EEvPT_PT0_
    .private_segment_fixed_size: 0
    .sgpr_count:     7
    .sgpr_spill_count: 0
    .symbol:         _Z30warp_striped_to_blocked_kernelIiiLj384ELj3EEvPT_PT0_.kd
    .uniform_work_group_size: 1
    .uses_dynamic_stack: false
    .vgpr_count:     6
    .vgpr_spill_count: 0
    .wavefront_size: 32
  - .args:
      - .address_space:  global
        .offset:         0
        .size:           8
        .value_kind:     global_buffer
      - .address_space:  global
        .offset:         8
        .size:           8
        .value_kind:     global_buffer
    .group_segment_fixed_size: 1792
    .kernarg_segment_align: 8
    .kernarg_segment_size: 16
    .language:       OpenCL C
    .language_version:
      - 2
      - 0
    .max_flat_workgroup_size: 512
    .name:           _Z30warp_striped_to_blocked_kernelIs5dummyIfELj896ELj7EEvPT_PT0_
    .private_segment_fixed_size: 0
    .sgpr_count:     8
    .sgpr_spill_count: 0
    .symbol:         _Z30warp_striped_to_blocked_kernelIs5dummyIfELj896ELj7EEvPT_PT0_.kd
    .uniform_work_group_size: 1
    .uses_dynamic_stack: false
    .vgpr_count:     21
    .vgpr_spill_count: 0
    .wavefront_size: 32
  - .args:
      - .address_space:  global
        .offset:         0
        .size:           8
        .value_kind:     global_buffer
      - .address_space:  global
        .offset:         8
        .size:           8
        .value_kind:     global_buffer
    .group_segment_fixed_size: 10240
    .kernarg_segment_align: 8
    .kernarg_segment_size: 16
    .language:       OpenCL C
    .language_version:
      - 2
      - 0
    .max_flat_workgroup_size: 512
    .name:           _Z30warp_striped_to_blocked_kernelIiiLj2560ELj5EEvPT_PT0_
    .private_segment_fixed_size: 0
    .sgpr_count:     7
    .sgpr_spill_count: 0
    .symbol:         _Z30warp_striped_to_blocked_kernelIiiLj2560ELj5EEvPT_PT0_.kd
    .uniform_work_group_size: 1
    .uses_dynamic_stack: false
    .vgpr_count:     9
    .vgpr_spill_count: 0
    .wavefront_size: 32
  - .args:
      - .address_space:  global
        .offset:         0
        .size:           8
        .value_kind:     global_buffer
      - .address_space:  global
        .offset:         8
        .size:           8
        .value_kind:     global_buffer
    .group_segment_fixed_size: 8448
    .kernarg_segment_align: 8
    .kernarg_segment_size: 16
    .language:       OpenCL C
    .language_version:
      - 2
      - 0
    .max_flat_workgroup_size: 512
    .name:           _Z30warp_striped_to_blocked_kernelIxxLj1024ELj4EEvPT_PT0_
    .private_segment_fixed_size: 0
    .sgpr_count:     7
    .sgpr_spill_count: 0
    .symbol:         _Z30warp_striped_to_blocked_kernelIxxLj1024ELj4EEvPT_PT0_.kd
    .uniform_work_group_size: 1
    .uses_dynamic_stack: false
    .vgpr_count:     16
    .vgpr_spill_count: 0
    .wavefront_size: 32
  - .args:
      - .address_space:  global
        .offset:         0
        .size:           8
        .value_kind:     global_buffer
      - .address_space:  global
        .offset:         8
        .size:           8
        .value_kind:     global_buffer
    .group_segment_fixed_size: 528
    .kernarg_segment_align: 8
    .kernarg_segment_size: 16
    .language:       OpenCL C
    .language_version:
      - 2
      - 0
    .max_flat_workgroup_size: 512
    .name:           _Z30warp_striped_to_blocked_kernelIiiLj128ELj2EEvPT_PT0_
    .private_segment_fixed_size: 0
    .sgpr_count:     7
    .sgpr_spill_count: 0
    .symbol:         _Z30warp_striped_to_blocked_kernelIiiLj128ELj2EEvPT_PT0_.kd
    .uniform_work_group_size: 1
    .uses_dynamic_stack: false
    .vgpr_count:     8
    .vgpr_spill_count: 0
    .wavefront_size: 32
  - .args:
      - .address_space:  global
        .offset:         0
        .size:           8
        .value_kind:     global_buffer
      - .address_space:  global
        .offset:         8
        .size:           8
        .value_kind:     global_buffer
    .group_segment_fixed_size: 4096
    .kernarg_segment_align: 8
    .kernarg_segment_size: 16
    .language:       OpenCL C
    .language_version:
      - 2
      - 0
    .max_flat_workgroup_size: 512
    .name:           _Z30warp_striped_to_blocked_kernelIxxLj512ELj1EEvPT_PT0_
    .private_segment_fixed_size: 0
    .sgpr_count:     7
    .sgpr_spill_count: 0
    .symbol:         _Z30warp_striped_to_blocked_kernelIxxLj512ELj1EEvPT_PT0_.kd
    .uniform_work_group_size: 1
    .uses_dynamic_stack: false
    .vgpr_count:     4
    .vgpr_spill_count: 0
    .wavefront_size: 32
  - .args:
      - .address_space:  global
        .offset:         0
        .size:           8
        .value_kind:     global_buffer
      - .address_space:  global
        .offset:         8
        .size:           8
        .value_kind:     global_buffer
    .group_segment_fixed_size: 512
    .kernarg_segment_align: 8
    .kernarg_segment_size: 16
    .language:       OpenCL C
    .language_version:
      - 2
      - 0
    .max_flat_workgroup_size: 512
    .name:           _Z30warp_striped_to_blocked_kernelIs5dummyIiELj256ELj1EEvPT_PT0_
    .private_segment_fixed_size: 0
    .sgpr_count:     8
    .sgpr_spill_count: 0
    .symbol:         _Z30warp_striped_to_blocked_kernelIs5dummyIiELj256ELj1EEvPT_PT0_.kd
    .uniform_work_group_size: 1
    .uses_dynamic_stack: false
    .vgpr_count:     4
    .vgpr_spill_count: 0
    .wavefront_size: 32
  - .args:
      - .address_space:  global
        .offset:         0
        .size:           8
        .value_kind:     global_buffer
      - .address_space:  global
        .offset:         8
        .size:           8
        .value_kind:     global_buffer
    .group_segment_fixed_size: 1024
    .kernarg_segment_align: 8
    .kernarg_segment_size: 16
    .language:       OpenCL C
    .language_version:
      - 2
      - 0
    .max_flat_workgroup_size: 512
    .name:           _Z30warp_striped_to_blocked_kernelIyyLj128ELj1EEvPT_PT0_
    .private_segment_fixed_size: 0
    .sgpr_count:     7
    .sgpr_spill_count: 0
    .symbol:         _Z30warp_striped_to_blocked_kernelIyyLj128ELj1EEvPT_PT0_.kd
    .uniform_work_group_size: 1
    .uses_dynamic_stack: false
    .vgpr_count:     4
    .vgpr_spill_count: 0
    .wavefront_size: 32
  - .args:
      - .address_space:  global
        .offset:         0
        .size:           8
        .value_kind:     global_buffer
      - .address_space:  global
        .offset:         8
        .size:           8
        .value_kind:     global_buffer
    .group_segment_fixed_size: 256
    .kernarg_segment_align: 8
    .kernarg_segment_size: 16
    .language:       OpenCL C
    .language_version:
      - 2
      - 0
    .max_flat_workgroup_size: 512
    .name:           _Z30warp_striped_to_blocked_kernelIixLj64ELj1EEvPT_PT0_
    .private_segment_fixed_size: 0
    .sgpr_count:     8
    .sgpr_spill_count: 0
    .symbol:         _Z30warp_striped_to_blocked_kernelIixLj64ELj1EEvPT_PT0_.kd
    .uniform_work_group_size: 1
    .uses_dynamic_stack: false
    .vgpr_count:     4
    .vgpr_spill_count: 0
    .wavefront_size: 32
  - .args:
      - .address_space:  global
        .offset:         0
        .size:           8
        .value_kind:     global_buffer
      - .address_space:  global
        .offset:         8
        .size:           8
        .value_kind:     global_buffer
    .group_segment_fixed_size: 1056
    .kernarg_segment_align: 8
    .kernarg_segment_size: 16
    .language:       OpenCL C
    .language_version:
      - 2
      - 0
    .max_flat_workgroup_size: 512
    .name:           _Z30warp_striped_to_blocked_kernelI6__halfS0_Lj512ELj4EEvPT_PT0_
    .private_segment_fixed_size: 0
    .sgpr_count:     7
    .sgpr_spill_count: 0
    .symbol:         _Z30warp_striped_to_blocked_kernelI6__halfS0_Lj512ELj4EEvPT_PT0_.kd
    .uniform_work_group_size: 1
    .uses_dynamic_stack: false
    .vgpr_count:     10
    .vgpr_spill_count: 0
    .wavefront_size: 32
  - .args:
      - .address_space:  global
        .offset:         0
        .size:           8
        .value_kind:     global_buffer
      - .address_space:  global
        .offset:         8
        .size:           8
        .value_kind:     global_buffer
    .group_segment_fixed_size: 1056
    .kernarg_segment_align: 8
    .kernarg_segment_size: 16
    .language:       OpenCL C
    .language_version:
      - 2
      - 0
    .max_flat_workgroup_size: 512
    .name:           _Z30warp_striped_to_blocked_kernelI12hip_bfloat16S0_Lj512ELj4EEvPT_PT0_
    .private_segment_fixed_size: 0
    .sgpr_count:     7
    .sgpr_spill_count: 0
    .symbol:         _Z30warp_striped_to_blocked_kernelI12hip_bfloat16S0_Lj512ELj4EEvPT_PT0_.kd
    .uniform_work_group_size: 1
    .uses_dynamic_stack: false
    .vgpr_count:     10
    .vgpr_spill_count: 0
    .wavefront_size: 32
  - .args:
      - .address_space:  global
        .offset:         0
        .size:           8
        .value_kind:     global_buffer
      - .address_space:  global
        .offset:         8
        .size:           8
        .value_kind:     global_buffer
    .group_segment_fixed_size: 2112
    .kernarg_segment_align: 8
    .kernarg_segment_size: 16
    .language:       OpenCL C
    .language_version:
      - 2
      - 0
    .max_flat_workgroup_size: 512
    .name:           _Z30warp_striped_to_blocked_kernelIfdLj512ELj4EEvPT_PT0_
    .private_segment_fixed_size: 0
    .sgpr_count:     8
    .sgpr_spill_count: 0
    .symbol:         _Z30warp_striped_to_blocked_kernelIfdLj512ELj4EEvPT_PT0_.kd
    .uniform_work_group_size: 1
    .uses_dynamic_stack: false
    .vgpr_count:     12
    .vgpr_spill_count: 0
    .wavefront_size: 32
  - .args:
      - .address_space:  global
        .offset:         0
        .size:           8
        .value_kind:     global_buffer
      - .address_space:  global
        .offset:         8
        .size:           8
        .value_kind:     global_buffer
    .group_segment_fixed_size: 2112
    .kernarg_segment_align: 8
    .kernarg_segment_size: 16
    .language:       OpenCL C
    .language_version:
      - 2
      - 0
    .max_flat_workgroup_size: 512
    .name:           _Z30warp_striped_to_blocked_kernelIiiLj512ELj4EEvPT_PT0_
    .private_segment_fixed_size: 0
    .sgpr_count:     7
    .sgpr_spill_count: 0
    .symbol:         _Z30warp_striped_to_blocked_kernelIiiLj512ELj4EEvPT_PT0_.kd
    .uniform_work_group_size: 1
    .uses_dynamic_stack: false
    .vgpr_count:     12
    .vgpr_spill_count: 0
    .wavefront_size: 32
  - .args:
      - .address_space:  global
        .offset:         0
        .size:           8
        .value_kind:     global_buffer
      - .address_space:  global
        .offset:         8
        .size:           8
        .value_kind:     global_buffer
      - .address_space:  global
        .offset:         16
        .size:           8
        .value_kind:     global_buffer
    .group_segment_fixed_size: 4224
    .kernarg_segment_align: 8
    .kernarg_segment_size: 24
    .language:       OpenCL C
    .language_version:
      - 2
      - 0
    .max_flat_workgroup_size: 512
    .name:           _Z25scatter_to_blocked_kernelIsiLj2106ELj9EEvPT_PT0_Pj
    .private_segment_fixed_size: 0
    .sgpr_count:     10
    .sgpr_spill_count: 0
    .symbol:         _Z25scatter_to_blocked_kernelIsiLj2106ELj9EEvPT_PT0_Pj.kd
    .uniform_work_group_size: 1
    .uses_dynamic_stack: false
    .vgpr_count:     17
    .vgpr_spill_count: 0
    .wavefront_size: 32
  - .args:
      - .address_space:  global
        .offset:         0
        .size:           8
        .value_kind:     global_buffer
      - .address_space:  global
        .offset:         8
        .size:           8
        .value_kind:     global_buffer
      - .address_space:  global
        .offset:         16
        .size:           8
        .value_kind:     global_buffer
    .group_segment_fixed_size: 608
    .kernarg_segment_align: 8
    .kernarg_segment_size: 24
    .language:       OpenCL C
    .language_version:
      - 2
      - 0
    .max_flat_workgroup_size: 512
    .name:           _Z25scatter_to_blocked_kernelItjLj300ELj3EEvPT_PT0_Pj
    .private_segment_fixed_size: 0
    .sgpr_count:     10
    .sgpr_spill_count: 0
    .symbol:         _Z25scatter_to_blocked_kernelItjLj300ELj3EEvPT_PT0_Pj.kd
    .uniform_work_group_size: 1
    .uses_dynamic_stack: false
    .vgpr_count:     8
    .vgpr_spill_count: 0
    .wavefront_size: 32
  - .args:
      - .address_space:  global
        .offset:         0
        .size:           8
        .value_kind:     global_buffer
      - .address_space:  global
        .offset:         8
        .size:           8
        .value_kind:     global_buffer
      - .address_space:  global
        .offset:         16
        .size:           8
        .value_kind:     global_buffer
    .group_segment_fixed_size: 960
    .kernarg_segment_align: 8
    .kernarg_segment_size: 24
    .language:       OpenCL C
    .language_version:
      - 2
      - 0
    .max_flat_workgroup_size: 512
    .name:           _Z25scatter_to_blocked_kernelIc5dummyIdELj928ELj2EEvPT_PT0_Pj
    .private_segment_fixed_size: 0
    .sgpr_count:     10
    .sgpr_spill_count: 0
    .symbol:         _Z25scatter_to_blocked_kernelIc5dummyIdELj928ELj2EEvPT_PT0_Pj.kd
    .uniform_work_group_size: 1
    .uses_dynamic_stack: false
    .vgpr_count:     10
    .vgpr_spill_count: 0
    .wavefront_size: 32
  - .args:
      - .address_space:  global
        .offset:         0
        .size:           8
        .value_kind:     global_buffer
      - .address_space:  global
        .offset:         8
        .size:           8
        .value_kind:     global_buffer
      - .address_space:  global
        .offset:         16
        .size:           8
        .value_kind:     global_buffer
    .group_segment_fixed_size: 672
    .kernarg_segment_align: 8
    .kernarg_segment_size: 24
    .language:       OpenCL C
    .language_version:
      - 2
      - 0
    .max_flat_workgroup_size: 512
    .name:           _Z25scatter_to_blocked_kernelIfiLj165ELj5EEvPT_PT0_Pj
    .private_segment_fixed_size: 0
    .sgpr_count:     9
    .sgpr_spill_count: 0
    .symbol:         _Z25scatter_to_blocked_kernelIfiLj165ELj5EEvPT_PT0_Pj.kd
    .uniform_work_group_size: 1
    .uses_dynamic_stack: false
    .vgpr_count:     12
    .vgpr_spill_count: 0
    .wavefront_size: 32
  - .args:
      - .address_space:  global
        .offset:         0
        .size:           8
        .value_kind:     global_buffer
      - .address_space:  global
        .offset:         8
        .size:           8
        .value_kind:     global_buffer
      - .address_space:  global
        .offset:         16
        .size:           8
        .value_kind:     global_buffer
    .group_segment_fixed_size: 672
    .kernarg_segment_align: 8
    .kernarg_segment_size: 24
    .language:       OpenCL C
    .language_version:
      - 2
      - 0
    .max_flat_workgroup_size: 512
    .name:           _Z25scatter_to_blocked_kernelIidLj165ELj5EEvPT_PT0_Pj
    .private_segment_fixed_size: 0
    .sgpr_count:     10
    .sgpr_spill_count: 0
    .symbol:         _Z25scatter_to_blocked_kernelIidLj165ELj5EEvPT_PT0_Pj.kd
    .uniform_work_group_size: 1
    .uses_dynamic_stack: false
    .vgpr_count:     12
    .vgpr_spill_count: 0
    .wavefront_size: 32
  - .args:
      - .address_space:  global
        .offset:         0
        .size:           8
        .value_kind:     global_buffer
      - .address_space:  global
        .offset:         8
        .size:           8
        .value_kind:     global_buffer
      - .address_space:  global
        .offset:         16
        .size:           8
        .value_kind:     global_buffer
    .group_segment_fixed_size: 1536
    .kernarg_segment_align: 8
    .kernarg_segment_size: 24
    .language:       OpenCL C
    .language_version:
      - 2
      - 0
    .max_flat_workgroup_size: 512
    .name:           _Z25scatter_to_blocked_kernelIyyLj192ELj3EEvPT_PT0_Pj
    .private_segment_fixed_size: 0
    .sgpr_count:     10
    .sgpr_spill_count: 0
    .symbol:         _Z25scatter_to_blocked_kernelIyyLj192ELj3EEvPT_PT0_Pj.kd
    .uniform_work_group_size: 1
    .uses_dynamic_stack: false
    .vgpr_count:     11
    .vgpr_spill_count: 0
    .wavefront_size: 32
  - .args:
      - .address_space:  global
        .offset:         0
        .size:           8
        .value_kind:     global_buffer
      - .address_space:  global
        .offset:         8
        .size:           8
        .value_kind:     global_buffer
      - .address_space:  global
        .offset:         16
        .size:           8
        .value_kind:     global_buffer
    .group_segment_fixed_size: 1536
    .kernarg_segment_align: 8
    .kernarg_segment_size: 24
    .language:       OpenCL C
    .language_version:
      - 2
      - 0
    .max_flat_workgroup_size: 512
    .name:           _Z25scatter_to_blocked_kernelIiiLj384ELj3EEvPT_PT0_Pj
    .private_segment_fixed_size: 0
    .sgpr_count:     9
    .sgpr_spill_count: 0
    .symbol:         _Z25scatter_to_blocked_kernelIiiLj384ELj3EEvPT_PT0_Pj.kd
    .uniform_work_group_size: 1
    .uses_dynamic_stack: false
    .vgpr_count:     7
    .vgpr_spill_count: 0
    .wavefront_size: 32
  - .args:
      - .address_space:  global
        .offset:         0
        .size:           8
        .value_kind:     global_buffer
      - .address_space:  global
        .offset:         8
        .size:           8
        .value_kind:     global_buffer
      - .address_space:  global
        .offset:         16
        .size:           8
        .value_kind:     global_buffer
    .group_segment_fixed_size: 1792
    .kernarg_segment_align: 8
    .kernarg_segment_size: 24
    .language:       OpenCL C
    .language_version:
      - 2
      - 0
    .max_flat_workgroup_size: 512
    .name:           _Z25scatter_to_blocked_kernelIs5dummyIfELj896ELj7EEvPT_PT0_Pj
    .private_segment_fixed_size: 0
    .sgpr_count:     10
    .sgpr_spill_count: 0
    .symbol:         _Z25scatter_to_blocked_kernelIs5dummyIfELj896ELj7EEvPT_PT0_Pj.kd
    .uniform_work_group_size: 1
    .uses_dynamic_stack: false
    .vgpr_count:     21
    .vgpr_spill_count: 0
    .wavefront_size: 32
  - .args:
      - .address_space:  global
        .offset:         0
        .size:           8
        .value_kind:     global_buffer
      - .address_space:  global
        .offset:         8
        .size:           8
        .value_kind:     global_buffer
      - .address_space:  global
        .offset:         16
        .size:           8
        .value_kind:     global_buffer
    .group_segment_fixed_size: 10240
    .kernarg_segment_align: 8
    .kernarg_segment_size: 24
    .language:       OpenCL C
    .language_version:
      - 2
      - 0
    .max_flat_workgroup_size: 512
    .name:           _Z25scatter_to_blocked_kernelIiiLj2560ELj5EEvPT_PT0_Pj
    .private_segment_fixed_size: 0
    .sgpr_count:     9
    .sgpr_spill_count: 0
    .symbol:         _Z25scatter_to_blocked_kernelIiiLj2560ELj5EEvPT_PT0_Pj.kd
    .uniform_work_group_size: 1
    .uses_dynamic_stack: false
    .vgpr_count:     12
    .vgpr_spill_count: 0
    .wavefront_size: 32
  - .args:
      - .address_space:  global
        .offset:         0
        .size:           8
        .value_kind:     global_buffer
      - .address_space:  global
        .offset:         8
        .size:           8
        .value_kind:     global_buffer
      - .address_space:  global
        .offset:         16
        .size:           8
        .value_kind:     global_buffer
    .group_segment_fixed_size: 8448
    .kernarg_segment_align: 8
    .kernarg_segment_size: 24
    .language:       OpenCL C
    .language_version:
      - 2
      - 0
    .max_flat_workgroup_size: 512
    .name:           _Z25scatter_to_blocked_kernelIxxLj1024ELj4EEvPT_PT0_Pj
    .private_segment_fixed_size: 0
    .sgpr_count:     10
    .sgpr_spill_count: 0
    .symbol:         _Z25scatter_to_blocked_kernelIxxLj1024ELj4EEvPT_PT0_Pj.kd
    .uniform_work_group_size: 1
    .uses_dynamic_stack: false
    .vgpr_count:     18
    .vgpr_spill_count: 0
    .wavefront_size: 32
  - .args:
      - .address_space:  global
        .offset:         0
        .size:           8
        .value_kind:     global_buffer
      - .address_space:  global
        .offset:         8
        .size:           8
        .value_kind:     global_buffer
      - .address_space:  global
        .offset:         16
        .size:           8
        .value_kind:     global_buffer
    .group_segment_fixed_size: 528
    .kernarg_segment_align: 8
    .kernarg_segment_size: 24
    .language:       OpenCL C
    .language_version:
      - 2
      - 0
    .max_flat_workgroup_size: 512
    .name:           _Z25scatter_to_blocked_kernelIiiLj128ELj2EEvPT_PT0_Pj
    .private_segment_fixed_size: 0
    .sgpr_count:     8
    .sgpr_spill_count: 0
    .symbol:         _Z25scatter_to_blocked_kernelIiiLj128ELj2EEvPT_PT0_Pj.kd
    .uniform_work_group_size: 1
    .uses_dynamic_stack: false
    .vgpr_count:     8
    .vgpr_spill_count: 0
    .wavefront_size: 32
  - .args:
      - .address_space:  global
        .offset:         0
        .size:           8
        .value_kind:     global_buffer
      - .address_space:  global
        .offset:         8
        .size:           8
        .value_kind:     global_buffer
      - .address_space:  global
        .offset:         16
        .size:           8
        .value_kind:     global_buffer
    .group_segment_fixed_size: 4096
    .kernarg_segment_align: 8
    .kernarg_segment_size: 24
    .language:       OpenCL C
    .language_version:
      - 2
      - 0
    .max_flat_workgroup_size: 512
    .name:           _Z25scatter_to_blocked_kernelIxxLj512ELj1EEvPT_PT0_Pj
    .private_segment_fixed_size: 0
    .sgpr_count:     10
    .sgpr_spill_count: 0
    .symbol:         _Z25scatter_to_blocked_kernelIxxLj512ELj1EEvPT_PT0_Pj.kd
    .uniform_work_group_size: 1
    .uses_dynamic_stack: false
    .vgpr_count:     5
    .vgpr_spill_count: 0
    .wavefront_size: 32
  - .args:
      - .address_space:  global
        .offset:         0
        .size:           8
        .value_kind:     global_buffer
      - .address_space:  global
        .offset:         8
        .size:           8
        .value_kind:     global_buffer
      - .address_space:  global
        .offset:         16
        .size:           8
        .value_kind:     global_buffer
    .group_segment_fixed_size: 512
    .kernarg_segment_align: 8
    .kernarg_segment_size: 24
    .language:       OpenCL C
    .language_version:
      - 2
      - 0
    .max_flat_workgroup_size: 512
    .name:           _Z25scatter_to_blocked_kernelIs5dummyIiELj256ELj1EEvPT_PT0_Pj
    .private_segment_fixed_size: 0
    .sgpr_count:     10
    .sgpr_spill_count: 0
    .symbol:         _Z25scatter_to_blocked_kernelIs5dummyIiELj256ELj1EEvPT_PT0_Pj.kd
    .uniform_work_group_size: 1
    .uses_dynamic_stack: false
    .vgpr_count:     4
    .vgpr_spill_count: 0
    .wavefront_size: 32
  - .args:
      - .address_space:  global
        .offset:         0
        .size:           8
        .value_kind:     global_buffer
      - .address_space:  global
        .offset:         8
        .size:           8
        .value_kind:     global_buffer
      - .address_space:  global
        .offset:         16
        .size:           8
        .value_kind:     global_buffer
    .group_segment_fixed_size: 1024
    .kernarg_segment_align: 8
    .kernarg_segment_size: 24
    .language:       OpenCL C
    .language_version:
      - 2
      - 0
    .max_flat_workgroup_size: 512
    .name:           _Z25scatter_to_blocked_kernelIyyLj128ELj1EEvPT_PT0_Pj
    .private_segment_fixed_size: 0
    .sgpr_count:     10
    .sgpr_spill_count: 0
    .symbol:         _Z25scatter_to_blocked_kernelIyyLj128ELj1EEvPT_PT0_Pj.kd
    .uniform_work_group_size: 1
    .uses_dynamic_stack: false
    .vgpr_count:     5
    .vgpr_spill_count: 0
    .wavefront_size: 32
  - .args:
      - .address_space:  global
        .offset:         0
        .size:           8
        .value_kind:     global_buffer
      - .address_space:  global
        .offset:         8
        .size:           8
        .value_kind:     global_buffer
      - .address_space:  global
        .offset:         16
        .size:           8
        .value_kind:     global_buffer
    .group_segment_fixed_size: 256
    .kernarg_segment_align: 8
    .kernarg_segment_size: 24
    .language:       OpenCL C
    .language_version:
      - 2
      - 0
    .max_flat_workgroup_size: 512
    .name:           _Z25scatter_to_blocked_kernelIixLj64ELj1EEvPT_PT0_Pj
    .private_segment_fixed_size: 0
    .sgpr_count:     10
    .sgpr_spill_count: 0
    .symbol:         _Z25scatter_to_blocked_kernelIixLj64ELj1EEvPT_PT0_Pj.kd
    .uniform_work_group_size: 1
    .uses_dynamic_stack: false
    .vgpr_count:     4
    .vgpr_spill_count: 0
    .wavefront_size: 32
  - .args:
      - .address_space:  global
        .offset:         0
        .size:           8
        .value_kind:     global_buffer
      - .address_space:  global
        .offset:         8
        .size:           8
        .value_kind:     global_buffer
      - .address_space:  global
        .offset:         16
        .size:           8
        .value_kind:     global_buffer
    .group_segment_fixed_size: 1056
    .kernarg_segment_align: 8
    .kernarg_segment_size: 24
    .language:       OpenCL C
    .language_version:
      - 2
      - 0
    .max_flat_workgroup_size: 512
    .name:           _Z25scatter_to_blocked_kernelI6__halfS0_Lj512ELj4EEvPT_PT0_Pj
    .private_segment_fixed_size: 0
    .sgpr_count:     10
    .sgpr_spill_count: 0
    .symbol:         _Z25scatter_to_blocked_kernelI6__halfS0_Lj512ELj4EEvPT_PT0_Pj.kd
    .uniform_work_group_size: 1
    .uses_dynamic_stack: false
    .vgpr_count:     12
    .vgpr_spill_count: 0
    .wavefront_size: 32
  - .args:
      - .address_space:  global
        .offset:         0
        .size:           8
        .value_kind:     global_buffer
      - .address_space:  global
        .offset:         8
        .size:           8
        .value_kind:     global_buffer
      - .address_space:  global
        .offset:         16
        .size:           8
        .value_kind:     global_buffer
    .group_segment_fixed_size: 1056
    .kernarg_segment_align: 8
    .kernarg_segment_size: 24
    .language:       OpenCL C
    .language_version:
      - 2
      - 0
    .max_flat_workgroup_size: 512
    .name:           _Z25scatter_to_blocked_kernelI12hip_bfloat16S0_Lj512ELj4EEvPT_PT0_Pj
    .private_segment_fixed_size: 0
    .sgpr_count:     10
    .sgpr_spill_count: 0
    .symbol:         _Z25scatter_to_blocked_kernelI12hip_bfloat16S0_Lj512ELj4EEvPT_PT0_Pj.kd
    .uniform_work_group_size: 1
    .uses_dynamic_stack: false
    .vgpr_count:     12
    .vgpr_spill_count: 0
    .wavefront_size: 32
  - .args:
      - .address_space:  global
        .offset:         0
        .size:           8
        .value_kind:     global_buffer
      - .address_space:  global
        .offset:         8
        .size:           8
        .value_kind:     global_buffer
      - .address_space:  global
        .offset:         16
        .size:           8
        .value_kind:     global_buffer
    .group_segment_fixed_size: 2112
    .kernarg_segment_align: 8
    .kernarg_segment_size: 24
    .language:       OpenCL C
    .language_version:
      - 2
      - 0
    .max_flat_workgroup_size: 512
    .name:           _Z25scatter_to_blocked_kernelIfdLj512ELj4EEvPT_PT0_Pj
    .private_segment_fixed_size: 0
    .sgpr_count:     10
    .sgpr_spill_count: 0
    .symbol:         _Z25scatter_to_blocked_kernelIfdLj512ELj4EEvPT_PT0_Pj.kd
    .uniform_work_group_size: 1
    .uses_dynamic_stack: false
    .vgpr_count:     14
    .vgpr_spill_count: 0
    .wavefront_size: 32
  - .args:
      - .address_space:  global
        .offset:         0
        .size:           8
        .value_kind:     global_buffer
      - .address_space:  global
        .offset:         8
        .size:           8
        .value_kind:     global_buffer
      - .address_space:  global
        .offset:         16
        .size:           8
        .value_kind:     global_buffer
    .group_segment_fixed_size: 2112
    .kernarg_segment_align: 8
    .kernarg_segment_size: 24
    .language:       OpenCL C
    .language_version:
      - 2
      - 0
    .max_flat_workgroup_size: 512
    .name:           _Z25scatter_to_blocked_kernelIiiLj512ELj4EEvPT_PT0_Pj
    .private_segment_fixed_size: 0
    .sgpr_count:     8
    .sgpr_spill_count: 0
    .symbol:         _Z25scatter_to_blocked_kernelIiiLj512ELj4EEvPT_PT0_Pj.kd
    .uniform_work_group_size: 1
    .uses_dynamic_stack: false
    .vgpr_count:     14
    .vgpr_spill_count: 0
    .wavefront_size: 32
  - .args:
      - .address_space:  global
        .offset:         0
        .size:           8
        .value_kind:     global_buffer
      - .address_space:  global
        .offset:         8
        .size:           8
        .value_kind:     global_buffer
      - .address_space:  global
        .offset:         16
        .size:           8
        .value_kind:     global_buffer
    .group_segment_fixed_size: 4224
    .kernarg_segment_align: 8
    .kernarg_segment_size: 24
    .language:       OpenCL C
    .language_version:
      - 2
      - 0
    .max_flat_workgroup_size: 512
    .name:           _Z25scatter_to_striped_kernelIsiLj2106ELj9EEvPT_PT0_Pj
    .private_segment_fixed_size: 0
    .sgpr_count:     10
    .sgpr_spill_count: 0
    .symbol:         _Z25scatter_to_striped_kernelIsiLj2106ELj9EEvPT_PT0_Pj.kd
    .uniform_work_group_size: 1
    .uses_dynamic_stack: false
    .vgpr_count:     19
    .vgpr_spill_count: 0
    .wavefront_size: 32
  - .args:
      - .address_space:  global
        .offset:         0
        .size:           8
        .value_kind:     global_buffer
      - .address_space:  global
        .offset:         8
        .size:           8
        .value_kind:     global_buffer
      - .address_space:  global
        .offset:         16
        .size:           8
        .value_kind:     global_buffer
    .group_segment_fixed_size: 608
    .kernarg_segment_align: 8
    .kernarg_segment_size: 24
    .language:       OpenCL C
    .language_version:
      - 2
      - 0
    .max_flat_workgroup_size: 512
    .name:           _Z25scatter_to_striped_kernelItjLj300ELj3EEvPT_PT0_Pj
    .private_segment_fixed_size: 0
    .sgpr_count:     10
    .sgpr_spill_count: 0
    .symbol:         _Z25scatter_to_striped_kernelItjLj300ELj3EEvPT_PT0_Pj.kd
    .uniform_work_group_size: 1
    .uses_dynamic_stack: false
    .vgpr_count:     9
    .vgpr_spill_count: 0
    .wavefront_size: 32
  - .args:
      - .address_space:  global
        .offset:         0
        .size:           8
        .value_kind:     global_buffer
      - .address_space:  global
        .offset:         8
        .size:           8
        .value_kind:     global_buffer
      - .address_space:  global
        .offset:         16
        .size:           8
        .value_kind:     global_buffer
    .group_segment_fixed_size: 960
    .kernarg_segment_align: 8
    .kernarg_segment_size: 24
    .language:       OpenCL C
    .language_version:
      - 2
      - 0
    .max_flat_workgroup_size: 512
    .name:           _Z25scatter_to_striped_kernelIc5dummyIdELj928ELj2EEvPT_PT0_Pj
    .private_segment_fixed_size: 0
    .sgpr_count:     10
    .sgpr_spill_count: 0
    .symbol:         _Z25scatter_to_striped_kernelIc5dummyIdELj928ELj2EEvPT_PT0_Pj.kd
    .uniform_work_group_size: 1
    .uses_dynamic_stack: false
    .vgpr_count:     10
    .vgpr_spill_count: 0
    .wavefront_size: 32
  - .args:
      - .address_space:  global
        .offset:         0
        .size:           8
        .value_kind:     global_buffer
      - .address_space:  global
        .offset:         8
        .size:           8
        .value_kind:     global_buffer
      - .address_space:  global
        .offset:         16
        .size:           8
        .value_kind:     global_buffer
    .group_segment_fixed_size: 672
    .kernarg_segment_align: 8
    .kernarg_segment_size: 24
    .language:       OpenCL C
    .language_version:
      - 2
      - 0
    .max_flat_workgroup_size: 512
    .name:           _Z25scatter_to_striped_kernelIfiLj165ELj5EEvPT_PT0_Pj
    .private_segment_fixed_size: 0
    .sgpr_count:     9
    .sgpr_spill_count: 0
    .symbol:         _Z25scatter_to_striped_kernelIfiLj165ELj5EEvPT_PT0_Pj.kd
    .uniform_work_group_size: 1
    .uses_dynamic_stack: false
    .vgpr_count:     14
    .vgpr_spill_count: 0
    .wavefront_size: 32
  - .args:
      - .address_space:  global
        .offset:         0
        .size:           8
        .value_kind:     global_buffer
      - .address_space:  global
        .offset:         8
        .size:           8
        .value_kind:     global_buffer
      - .address_space:  global
        .offset:         16
        .size:           8
        .value_kind:     global_buffer
    .group_segment_fixed_size: 672
    .kernarg_segment_align: 8
    .kernarg_segment_size: 24
    .language:       OpenCL C
    .language_version:
      - 2
      - 0
    .max_flat_workgroup_size: 512
    .name:           _Z25scatter_to_striped_kernelIidLj165ELj5EEvPT_PT0_Pj
    .private_segment_fixed_size: 0
    .sgpr_count:     10
    .sgpr_spill_count: 0
    .symbol:         _Z25scatter_to_striped_kernelIidLj165ELj5EEvPT_PT0_Pj.kd
    .uniform_work_group_size: 1
    .uses_dynamic_stack: false
    .vgpr_count:     13
    .vgpr_spill_count: 0
    .wavefront_size: 32
  - .args:
      - .address_space:  global
        .offset:         0
        .size:           8
        .value_kind:     global_buffer
      - .address_space:  global
        .offset:         8
        .size:           8
        .value_kind:     global_buffer
      - .address_space:  global
        .offset:         16
        .size:           8
        .value_kind:     global_buffer
    .group_segment_fixed_size: 1536
    .kernarg_segment_align: 8
    .kernarg_segment_size: 24
    .language:       OpenCL C
    .language_version:
      - 2
      - 0
    .max_flat_workgroup_size: 512
    .name:           _Z25scatter_to_striped_kernelIyyLj192ELj3EEvPT_PT0_Pj
    .private_segment_fixed_size: 0
    .sgpr_count:     10
    .sgpr_spill_count: 0
    .symbol:         _Z25scatter_to_striped_kernelIyyLj192ELj3EEvPT_PT0_Pj.kd
    .uniform_work_group_size: 1
    .uses_dynamic_stack: false
    .vgpr_count:     13
    .vgpr_spill_count: 0
    .wavefront_size: 32
  - .args:
      - .address_space:  global
        .offset:         0
        .size:           8
        .value_kind:     global_buffer
      - .address_space:  global
        .offset:         8
        .size:           8
        .value_kind:     global_buffer
      - .address_space:  global
        .offset:         16
        .size:           8
        .value_kind:     global_buffer
    .group_segment_fixed_size: 1536
    .kernarg_segment_align: 8
    .kernarg_segment_size: 24
    .language:       OpenCL C
    .language_version:
      - 2
      - 0
    .max_flat_workgroup_size: 512
    .name:           _Z25scatter_to_striped_kernelIiiLj384ELj3EEvPT_PT0_Pj
    .private_segment_fixed_size: 0
    .sgpr_count:     9
    .sgpr_spill_count: 0
    .symbol:         _Z25scatter_to_striped_kernelIiiLj384ELj3EEvPT_PT0_Pj.kd
    .uniform_work_group_size: 1
    .uses_dynamic_stack: false
    .vgpr_count:     9
    .vgpr_spill_count: 0
    .wavefront_size: 32
  - .args:
      - .address_space:  global
        .offset:         0
        .size:           8
        .value_kind:     global_buffer
      - .address_space:  global
        .offset:         8
        .size:           8
        .value_kind:     global_buffer
      - .address_space:  global
        .offset:         16
        .size:           8
        .value_kind:     global_buffer
    .group_segment_fixed_size: 1792
    .kernarg_segment_align: 8
    .kernarg_segment_size: 24
    .language:       OpenCL C
    .language_version:
      - 2
      - 0
    .max_flat_workgroup_size: 512
    .name:           _Z25scatter_to_striped_kernelIs5dummyIfELj896ELj7EEvPT_PT0_Pj
    .private_segment_fixed_size: 0
    .sgpr_count:     10
    .sgpr_spill_count: 0
    .symbol:         _Z25scatter_to_striped_kernelIs5dummyIfELj896ELj7EEvPT_PT0_Pj.kd
    .uniform_work_group_size: 1
    .uses_dynamic_stack: false
    .vgpr_count:     21
    .vgpr_spill_count: 0
    .wavefront_size: 32
  - .args:
      - .address_space:  global
        .offset:         0
        .size:           8
        .value_kind:     global_buffer
      - .address_space:  global
        .offset:         8
        .size:           8
        .value_kind:     global_buffer
      - .address_space:  global
        .offset:         16
        .size:           8
        .value_kind:     global_buffer
    .group_segment_fixed_size: 10240
    .kernarg_segment_align: 8
    .kernarg_segment_size: 24
    .language:       OpenCL C
    .language_version:
      - 2
      - 0
    .max_flat_workgroup_size: 512
    .name:           _Z25scatter_to_striped_kernelIiiLj2560ELj5EEvPT_PT0_Pj
    .private_segment_fixed_size: 0
    .sgpr_count:     9
    .sgpr_spill_count: 0
    .symbol:         _Z25scatter_to_striped_kernelIiiLj2560ELj5EEvPT_PT0_Pj.kd
    .uniform_work_group_size: 1
    .uses_dynamic_stack: false
    .vgpr_count:     14
    .vgpr_spill_count: 0
    .wavefront_size: 32
  - .args:
      - .address_space:  global
        .offset:         0
        .size:           8
        .value_kind:     global_buffer
      - .address_space:  global
        .offset:         8
        .size:           8
        .value_kind:     global_buffer
      - .address_space:  global
        .offset:         16
        .size:           8
        .value_kind:     global_buffer
    .group_segment_fixed_size: 8448
    .kernarg_segment_align: 8
    .kernarg_segment_size: 24
    .language:       OpenCL C
    .language_version:
      - 2
      - 0
    .max_flat_workgroup_size: 512
    .name:           _Z25scatter_to_striped_kernelIxxLj1024ELj4EEvPT_PT0_Pj
    .private_segment_fixed_size: 0
    .sgpr_count:     10
    .sgpr_spill_count: 0
    .symbol:         _Z25scatter_to_striped_kernelIxxLj1024ELj4EEvPT_PT0_Pj.kd
    .uniform_work_group_size: 1
    .uses_dynamic_stack: false
    .vgpr_count:     15
    .vgpr_spill_count: 0
    .wavefront_size: 32
  - .args:
      - .address_space:  global
        .offset:         0
        .size:           8
        .value_kind:     global_buffer
      - .address_space:  global
        .offset:         8
        .size:           8
        .value_kind:     global_buffer
      - .address_space:  global
        .offset:         16
        .size:           8
        .value_kind:     global_buffer
    .group_segment_fixed_size: 528
    .kernarg_segment_align: 8
    .kernarg_segment_size: 24
    .language:       OpenCL C
    .language_version:
      - 2
      - 0
    .max_flat_workgroup_size: 512
    .name:           _Z25scatter_to_striped_kernelIiiLj128ELj2EEvPT_PT0_Pj
    .private_segment_fixed_size: 0
    .sgpr_count:     9
    .sgpr_spill_count: 0
    .symbol:         _Z25scatter_to_striped_kernelIiiLj128ELj2EEvPT_PT0_Pj.kd
    .uniform_work_group_size: 1
    .uses_dynamic_stack: false
    .vgpr_count:     6
    .vgpr_spill_count: 0
    .wavefront_size: 32
  - .args:
      - .address_space:  global
        .offset:         0
        .size:           8
        .value_kind:     global_buffer
      - .address_space:  global
        .offset:         8
        .size:           8
        .value_kind:     global_buffer
      - .address_space:  global
        .offset:         16
        .size:           8
        .value_kind:     global_buffer
    .group_segment_fixed_size: 4096
    .kernarg_segment_align: 8
    .kernarg_segment_size: 24
    .language:       OpenCL C
    .language_version:
      - 2
      - 0
    .max_flat_workgroup_size: 512
    .name:           _Z25scatter_to_striped_kernelIxxLj512ELj1EEvPT_PT0_Pj
    .private_segment_fixed_size: 0
    .sgpr_count:     10
    .sgpr_spill_count: 0
    .symbol:         _Z25scatter_to_striped_kernelIxxLj512ELj1EEvPT_PT0_Pj.kd
    .uniform_work_group_size: 1
    .uses_dynamic_stack: false
    .vgpr_count:     5
    .vgpr_spill_count: 0
    .wavefront_size: 32
  - .args:
      - .address_space:  global
        .offset:         0
        .size:           8
        .value_kind:     global_buffer
      - .address_space:  global
        .offset:         8
        .size:           8
        .value_kind:     global_buffer
      - .address_space:  global
        .offset:         16
        .size:           8
        .value_kind:     global_buffer
    .group_segment_fixed_size: 512
    .kernarg_segment_align: 8
    .kernarg_segment_size: 24
    .language:       OpenCL C
    .language_version:
      - 2
      - 0
    .max_flat_workgroup_size: 512
    .name:           _Z25scatter_to_striped_kernelIs5dummyIiELj256ELj1EEvPT_PT0_Pj
    .private_segment_fixed_size: 0
    .sgpr_count:     10
    .sgpr_spill_count: 0
    .symbol:         _Z25scatter_to_striped_kernelIs5dummyIiELj256ELj1EEvPT_PT0_Pj.kd
    .uniform_work_group_size: 1
    .uses_dynamic_stack: false
    .vgpr_count:     4
    .vgpr_spill_count: 0
    .wavefront_size: 32
  - .args:
      - .address_space:  global
        .offset:         0
        .size:           8
        .value_kind:     global_buffer
      - .address_space:  global
        .offset:         8
        .size:           8
        .value_kind:     global_buffer
      - .address_space:  global
        .offset:         16
        .size:           8
        .value_kind:     global_buffer
    .group_segment_fixed_size: 1024
    .kernarg_segment_align: 8
    .kernarg_segment_size: 24
    .language:       OpenCL C
    .language_version:
      - 2
      - 0
    .max_flat_workgroup_size: 512
    .name:           _Z25scatter_to_striped_kernelIyyLj128ELj1EEvPT_PT0_Pj
    .private_segment_fixed_size: 0
    .sgpr_count:     10
    .sgpr_spill_count: 0
    .symbol:         _Z25scatter_to_striped_kernelIyyLj128ELj1EEvPT_PT0_Pj.kd
    .uniform_work_group_size: 1
    .uses_dynamic_stack: false
    .vgpr_count:     5
    .vgpr_spill_count: 0
    .wavefront_size: 32
  - .args:
      - .address_space:  global
        .offset:         0
        .size:           8
        .value_kind:     global_buffer
      - .address_space:  global
        .offset:         8
        .size:           8
        .value_kind:     global_buffer
      - .address_space:  global
        .offset:         16
        .size:           8
        .value_kind:     global_buffer
    .group_segment_fixed_size: 256
    .kernarg_segment_align: 8
    .kernarg_segment_size: 24
    .language:       OpenCL C
    .language_version:
      - 2
      - 0
    .max_flat_workgroup_size: 512
    .name:           _Z25scatter_to_striped_kernelIixLj64ELj1EEvPT_PT0_Pj
    .private_segment_fixed_size: 0
    .sgpr_count:     10
    .sgpr_spill_count: 0
    .symbol:         _Z25scatter_to_striped_kernelIixLj64ELj1EEvPT_PT0_Pj.kd
    .uniform_work_group_size: 1
    .uses_dynamic_stack: false
    .vgpr_count:     4
    .vgpr_spill_count: 0
    .wavefront_size: 32
  - .args:
      - .address_space:  global
        .offset:         0
        .size:           8
        .value_kind:     global_buffer
      - .address_space:  global
        .offset:         8
        .size:           8
        .value_kind:     global_buffer
      - .address_space:  global
        .offset:         16
        .size:           8
        .value_kind:     global_buffer
    .group_segment_fixed_size: 1056
    .kernarg_segment_align: 8
    .kernarg_segment_size: 24
    .language:       OpenCL C
    .language_version:
      - 2
      - 0
    .max_flat_workgroup_size: 512
    .name:           _Z25scatter_to_striped_kernelI6__halfS0_Lj512ELj4EEvPT_PT0_Pj
    .private_segment_fixed_size: 0
    .sgpr_count:     10
    .sgpr_spill_count: 0
    .symbol:         _Z25scatter_to_striped_kernelI6__halfS0_Lj512ELj4EEvPT_PT0_Pj.kd
    .uniform_work_group_size: 1
    .uses_dynamic_stack: false
    .vgpr_count:     8
    .vgpr_spill_count: 0
    .wavefront_size: 32
  - .args:
      - .address_space:  global
        .offset:         0
        .size:           8
        .value_kind:     global_buffer
      - .address_space:  global
        .offset:         8
        .size:           8
        .value_kind:     global_buffer
      - .address_space:  global
        .offset:         16
        .size:           8
        .value_kind:     global_buffer
    .group_segment_fixed_size: 1056
    .kernarg_segment_align: 8
    .kernarg_segment_size: 24
    .language:       OpenCL C
    .language_version:
      - 2
      - 0
    .max_flat_workgroup_size: 512
    .name:           _Z25scatter_to_striped_kernelI12hip_bfloat16S0_Lj512ELj4EEvPT_PT0_Pj
    .private_segment_fixed_size: 0
    .sgpr_count:     10
    .sgpr_spill_count: 0
    .symbol:         _Z25scatter_to_striped_kernelI12hip_bfloat16S0_Lj512ELj4EEvPT_PT0_Pj.kd
    .uniform_work_group_size: 1
    .uses_dynamic_stack: false
    .vgpr_count:     8
    .vgpr_spill_count: 0
    .wavefront_size: 32
  - .args:
      - .address_space:  global
        .offset:         0
        .size:           8
        .value_kind:     global_buffer
      - .address_space:  global
        .offset:         8
        .size:           8
        .value_kind:     global_buffer
      - .address_space:  global
        .offset:         16
        .size:           8
        .value_kind:     global_buffer
    .group_segment_fixed_size: 2112
    .kernarg_segment_align: 8
    .kernarg_segment_size: 24
    .language:       OpenCL C
    .language_version:
      - 2
      - 0
    .max_flat_workgroup_size: 512
    .name:           _Z25scatter_to_striped_kernelIfdLj512ELj4EEvPT_PT0_Pj
    .private_segment_fixed_size: 0
    .sgpr_count:     10
    .sgpr_spill_count: 0
    .symbol:         _Z25scatter_to_striped_kernelIfdLj512ELj4EEvPT_PT0_Pj.kd
    .uniform_work_group_size: 1
    .uses_dynamic_stack: false
    .vgpr_count:     11
    .vgpr_spill_count: 0
    .wavefront_size: 32
  - .args:
      - .address_space:  global
        .offset:         0
        .size:           8
        .value_kind:     global_buffer
      - .address_space:  global
        .offset:         8
        .size:           8
        .value_kind:     global_buffer
      - .address_space:  global
        .offset:         16
        .size:           8
        .value_kind:     global_buffer
    .group_segment_fixed_size: 2112
    .kernarg_segment_align: 8
    .kernarg_segment_size: 24
    .language:       OpenCL C
    .language_version:
      - 2
      - 0
    .max_flat_workgroup_size: 512
    .name:           _Z25scatter_to_striped_kernelIiiLj512ELj4EEvPT_PT0_Pj
    .private_segment_fixed_size: 0
    .sgpr_count:     9
    .sgpr_spill_count: 0
    .symbol:         _Z25scatter_to_striped_kernelIiiLj512ELj4EEvPT_PT0_Pj.kd
    .uniform_work_group_size: 1
    .uses_dynamic_stack: false
    .vgpr_count:     10
    .vgpr_spill_count: 0
    .wavefront_size: 32
amdhsa.target:   amdgcn-amd-amdhsa--gfx1250
amdhsa.version:
  - 1
  - 2
...

	.end_amdgpu_metadata
